;; amdgpu-corpus repo=ROCm/rocFFT kind=compiled arch=gfx1100 opt=O3
	.text
	.amdgcn_target "amdgcn-amd-amdhsa--gfx1100"
	.amdhsa_code_object_version 6
	.protected	bluestein_single_back_len1701_dim1_dp_op_CI_CI ; -- Begin function bluestein_single_back_len1701_dim1_dp_op_CI_CI
	.globl	bluestein_single_back_len1701_dim1_dp_op_CI_CI
	.p2align	8
	.type	bluestein_single_back_len1701_dim1_dp_op_CI_CI,@function
bluestein_single_back_len1701_dim1_dp_op_CI_CI: ; @bluestein_single_back_len1701_dim1_dp_op_CI_CI
; %bb.0:
	s_load_b128 s[16:19], s[0:1], 0x28
	v_mul_u32_u24_e32 v1, 0x411, v0
	s_mov_b32 s2, exec_lo
	v_mov_b32_e32 v7, 0
	s_delay_alu instid0(VALU_DEP_2) | instskip(NEXT) | instid1(VALU_DEP_1)
	v_lshrrev_b32_e32 v1, 16, v1
	v_add_nc_u32_e32 v6, s15, v1
	s_waitcnt lgkmcnt(0)
	s_delay_alu instid0(VALU_DEP_1)
	v_cmpx_gt_u64_e64 s[16:17], v[6:7]
	s_cbranch_execz .LBB0_10
; %bb.1:
	s_clause 0x1
	s_load_b128 s[4:7], s[0:1], 0x18
	s_load_b128 s[8:11], s[0:1], 0x0
	v_mul_lo_u16 v1, v1, 63
	v_mov_b32_e32 v4, v6
	s_delay_alu instid0(VALU_DEP_2)
	v_sub_nc_u16 v138, v0, v1
	scratch_store_b64 off, v[4:5], off offset:16 ; 8-byte Folded Spill
	v_and_b32_e32 v180, 0xffff, v138
	s_waitcnt lgkmcnt(0)
	s_load_b128 s[12:15], s[4:5], 0x0
	s_waitcnt lgkmcnt(0)
	v_mad_u64_u32 v[0:1], null, s14, v6, 0
	v_mad_u64_u32 v[2:3], null, s12, v180, 0
	s_mul_hi_u32 s4, s12, 0x2370
	s_mul_i32 s3, s12, 0x2370
	s_mul_i32 s5, s12, 0xffffbd10
	s_delay_alu instid0(VALU_DEP_1) | instskip(NEXT) | instid1(VALU_DEP_1)
	v_mad_u64_u32 v[4:5], null, s15, v6, v[1:2]
	v_mov_b32_e32 v1, v4
	s_delay_alu instid0(VALU_DEP_3) | instskip(SKIP_2) | instid1(VALU_DEP_4)
	v_mad_u64_u32 v[5:6], null, s13, v180, v[3:4]
	v_lshlrev_b32_e32 v136, 4, v180
	v_add_co_u32 v137, null, 0xbd, v180
	v_lshlrev_b64 v[0:1], 4, v[0:1]
	s_delay_alu instid0(VALU_DEP_3) | instskip(SKIP_2) | instid1(VALU_DEP_4)
	v_add_co_u32 v102, s2, s8, v136
	v_mov_b32_e32 v3, v5
	v_add_co_ci_u32_e64 v103, null, s9, 0, s2
	v_add_co_u32 v0, vcc_lo, s18, v0
	s_delay_alu instid0(VALU_DEP_3) | instskip(SKIP_4) | instid1(VALU_DEP_2)
	v_lshlrev_b64 v[2:3], 4, v[2:3]
	v_add_co_ci_u32_e32 v1, vcc_lo, s19, v1, vcc_lo
	s_mul_i32 s2, s13, 0x2370
	s_mulk_i32 s13, 0xbd10
	s_add_i32 s2, s4, s2
	v_add_co_u32 v4, vcc_lo, v0, v2
	v_add_co_ci_u32_e32 v5, vcc_lo, v1, v3, vcc_lo
	global_load_b128 v[54:57], v136, s[8:9]
	global_load_b128 v[0:3], v[4:5], off
	v_add_co_u32 v40, vcc_lo, 0x2000, v102
	v_add_co_ci_u32_e32 v41, vcc_lo, 0, v103, vcc_lo
	v_add_co_u32 v8, vcc_lo, v4, s3
	v_add_co_ci_u32_e32 v9, vcc_lo, s2, v5, vcc_lo
	;; [unrolled: 2-line block ×3, first 2 shown]
	global_load_b128 v[62:65], v[40:41], off offset:880
	global_load_b128 v[4:7], v[8:9], off
	v_add_co_u32 v12, vcc_lo, v8, s3
	v_add_co_ci_u32_e32 v13, vcc_lo, s2, v9, vcc_lo
	global_load_b128 v[70:73], v[100:101], off offset:1760
	global_load_b128 v[8:11], v[12:13], off
	s_mul_hi_u32 s4, s12, 0xffffbd10
	v_add_co_u32 v16, vcc_lo, v12, s5
	s_sub_i32 s4, s4, s12
	s_delay_alu instid0(SALU_CYCLE_1)
	s_add_i32 s4, s4, s13
	s_mov_b32 s13, 0xbfebb67a
	v_add_co_ci_u32_e32 v17, vcc_lo, s4, v13, vcc_lo
	global_load_b128 v[74:77], v136, s[8:9] offset:1008
	global_load_b128 v[12:15], v[16:17], off
	v_add_co_u32 v20, vcc_lo, v16, s3
	v_add_co_ci_u32_e32 v21, vcc_lo, s2, v17, vcc_lo
	global_load_b128 v[90:93], v[40:41], off offset:1888
	global_load_b128 v[16:19], v[20:21], off
	v_add_co_u32 v24, vcc_lo, v20, s3
	v_add_co_ci_u32_e32 v25, vcc_lo, s2, v21, vcc_lo
	global_load_b128 v[94:97], v[100:101], off offset:2768
	global_load_b128 v[20:23], v[24:25], off
	v_add_co_u32 v28, vcc_lo, v24, s5
	v_add_co_ci_u32_e32 v29, vcc_lo, s4, v25, vcc_lo
	global_load_b128 v[86:89], v136, s[8:9] offset:2016
	global_load_b128 v[24:27], v[28:29], off
	v_add_co_u32 v32, vcc_lo, v28, s3
	v_add_co_ci_u32_e32 v33, vcc_lo, s2, v29, vcc_lo
	global_load_b128 v[78:81], v[40:41], off offset:2896
	global_load_b128 v[28:31], v[32:33], off
	v_add_co_u32 v36, vcc_lo, v32, s3
	v_add_co_ci_u32_e32 v37, vcc_lo, s2, v33, vcc_lo
	global_load_b128 v[58:61], v[100:101], off offset:3776
	global_load_b128 v[32:35], v[36:37], off
	v_add_co_u32 v42, vcc_lo, v36, s5
	v_add_co_ci_u32_e32 v43, vcc_lo, s4, v37, vcc_lo
	global_load_b128 v[66:69], v136, s[8:9] offset:3024
	global_load_b128 v[36:39], v[42:43], off
	v_add_co_u32 v44, vcc_lo, v42, s3
	v_add_co_ci_u32_e32 v45, vcc_lo, s2, v43, vcc_lo
	global_load_b128 v[82:85], v[40:41], off offset:3904
	global_load_b128 v[40:43], v[44:45], off
	s_waitcnt vmcnt(21)
	scratch_store_b128 off, v[54:57], off offset:24 ; 16-byte Folded Spill
	s_waitcnt vmcnt(20)
	v_mul_f64 v[46:47], v[2:3], v[56:57]
	v_mul_f64 v[48:49], v[0:1], v[56:57]
	s_waitcnt vmcnt(19)
	scratch_store_b128 off, v[62:65], off offset:56 ; 16-byte Folded Spill
	s_waitcnt vmcnt(18)
	v_mul_f64 v[50:51], v[6:7], v[64:65]
	v_mul_f64 v[52:53], v[4:5], v[64:65]
	s_waitcnt vmcnt(17)
	scratch_store_b128 off, v[70:73], off offset:88 ; 16-byte Folded Spill
	s_waitcnt vmcnt(15)
	scratch_store_b128 off, v[74:77], off offset:104 ; 16-byte Folded Spill
	;; [unrolled: 2-line block ×3, first 2 shown]
	v_fma_f64 v[0:1], v[0:1], v[54:55], v[46:47]
	v_mul_f64 v[46:47], v[10:11], v[72:73]
	v_fma_f64 v[2:3], v[2:3], v[54:55], -v[48:49]
	v_mul_f64 v[48:49], v[8:9], v[72:73]
	s_waitcnt vmcnt(11)
	scratch_store_b128 off, v[94:97], off offset:184 ; 16-byte Folded Spill
	v_fma_f64 v[4:5], v[4:5], v[62:63], v[50:51]
	s_waitcnt vmcnt(9)
	scratch_store_b128 off, v[86:89], off offset:152 ; 16-byte Folded Spill
	v_mul_f64 v[50:51], v[14:15], v[76:77]
	v_fma_f64 v[6:7], v[6:7], v[62:63], -v[52:53]
	v_mul_f64 v[52:53], v[12:13], v[76:77]
	s_waitcnt vmcnt(7)
	scratch_store_b128 off, v[78:81], off offset:120 ; 16-byte Folded Spill
	s_waitcnt vmcnt(5)
	scratch_store_b128 off, v[58:61], off offset:40 ; 16-byte Folded Spill
	;; [unrolled: 2-line block ×3, first 2 shown]
	v_fma_f64 v[8:9], v[8:9], v[70:71], v[46:47]
	v_mul_f64 v[46:47], v[18:19], v[92:93]
	s_waitcnt vmcnt(1)
	scratch_store_b128 off, v[82:85], off offset:136 ; 16-byte Folded Spill
	v_fma_f64 v[10:11], v[10:11], v[70:71], -v[48:49]
	v_mul_f64 v[48:49], v[16:17], v[92:93]
	v_fma_f64 v[12:13], v[12:13], v[74:75], v[50:51]
	v_mul_f64 v[50:51], v[22:23], v[96:97]
	v_fma_f64 v[14:15], v[14:15], v[74:75], -v[52:53]
	v_mul_f64 v[52:53], v[20:21], v[96:97]
	v_fma_f64 v[16:17], v[16:17], v[90:91], v[46:47]
	v_mul_f64 v[46:47], v[26:27], v[88:89]
	;; [unrolled: 4-line block ×3, first 2 shown]
	v_fma_f64 v[22:23], v[22:23], v[94:95], -v[52:53]
	v_mul_f64 v[52:53], v[28:29], v[80:81]
	v_add_co_u32 v80, vcc_lo, 0x5000, v102
	v_add_co_ci_u32_e32 v81, vcc_lo, 0, v103, vcc_lo
	v_fma_f64 v[24:25], v[24:25], v[86:87], v[46:47]
	v_mul_f64 v[46:47], v[34:35], v[60:61]
	v_fma_f64 v[26:27], v[26:27], v[86:87], -v[48:49]
	v_mul_f64 v[48:49], v[32:33], v[60:61]
	v_fma_f64 v[28:29], v[28:29], v[78:79], v[50:51]
	v_mul_f64 v[50:51], v[38:39], v[68:69]
	v_fma_f64 v[30:31], v[30:31], v[78:79], -v[52:53]
	v_mul_f64 v[52:53], v[36:37], v[68:69]
	v_fma_f64 v[32:33], v[32:33], v[58:59], v[46:47]
	s_waitcnt vmcnt(0)
	v_mul_f64 v[46:47], v[42:43], v[84:85]
	v_fma_f64 v[34:35], v[34:35], v[58:59], -v[48:49]
	v_mul_f64 v[48:49], v[40:41], v[84:85]
	v_fma_f64 v[36:37], v[36:37], v[66:67], v[50:51]
	v_add_co_u32 v50, vcc_lo, v44, s3
	v_add_co_ci_u32_e32 v51, vcc_lo, s2, v45, vcc_lo
	v_fma_f64 v[38:39], v[38:39], v[66:67], -v[52:53]
	v_fma_f64 v[40:41], v[40:41], v[82:83], v[46:47]
	global_load_b128 v[54:57], v[80:81], off offset:688
	global_load_b128 v[44:47], v[50:51], off
	v_fma_f64 v[42:43], v[42:43], v[82:83], -v[48:49]
	s_waitcnt vmcnt(1)
	scratch_store_b128 off, v[54:57], off offset:440 ; 16-byte Folded Spill
	s_waitcnt vmcnt(0)
	v_mul_f64 v[52:53], v[44:45], v[56:57]
	v_mul_f64 v[48:49], v[46:47], v[56:57]
	s_delay_alu instid0(VALU_DEP_2) | instskip(SKIP_2) | instid1(VALU_DEP_4)
	v_fma_f64 v[46:47], v[46:47], v[54:55], -v[52:53]
	v_add_co_u32 v52, vcc_lo, v50, s5
	v_add_co_ci_u32_e32 v53, vcc_lo, s4, v51, vcc_lo
	v_fma_f64 v[44:45], v[44:45], v[54:55], v[48:49]
	global_load_b128 v[58:61], v136, s[8:9] offset:4032
	global_load_b128 v[48:51], v[52:53], off
	s_waitcnt vmcnt(1)
	scratch_store_b128 off, v[58:61], off offset:360 ; 16-byte Folded Spill
	s_waitcnt vmcnt(0)
	v_mul_f64 v[56:57], v[48:49], v[60:61]
	v_mul_f64 v[54:55], v[50:51], v[60:61]
	s_delay_alu instid0(VALU_DEP_2)
	v_fma_f64 v[50:51], v[50:51], v[58:59], -v[56:57]
	v_add_co_u32 v56, vcc_lo, v52, s3
	v_add_co_ci_u32_e32 v57, vcc_lo, s2, v53, vcc_lo
	v_add_co_u32 v88, vcc_lo, 0x3000, v102
	v_add_co_ci_u32_e32 v89, vcc_lo, 0, v103, vcc_lo
	v_fma_f64 v[48:49], v[48:49], v[58:59], v[54:55]
	global_load_b128 v[62:65], v[88:89], off offset:816
	global_load_b128 v[52:55], v[56:57], off
	s_waitcnt vmcnt(1)
	scratch_store_b128 off, v[62:65], off offset:392 ; 16-byte Folded Spill
	s_waitcnt vmcnt(0)
	v_mul_f64 v[60:61], v[52:53], v[64:65]
	v_mul_f64 v[58:59], v[54:55], v[64:65]
	s_delay_alu instid0(VALU_DEP_2) | instskip(SKIP_2) | instid1(VALU_DEP_4)
	v_fma_f64 v[54:55], v[54:55], v[62:63], -v[60:61]
	v_add_co_u32 v60, vcc_lo, v56, s3
	v_add_co_ci_u32_e32 v61, vcc_lo, s2, v57, vcc_lo
	v_fma_f64 v[52:53], v[52:53], v[62:63], v[58:59]
	global_load_b128 v[66:69], v[80:81], off offset:1696
	global_load_b128 v[56:59], v[60:61], off
	s_waitcnt vmcnt(1)
	scratch_store_b128 off, v[66:69], off offset:408 ; 16-byte Folded Spill
	s_waitcnt vmcnt(0)
	v_mul_f64 v[64:65], v[56:57], v[68:69]
	v_mul_f64 v[62:63], v[58:59], v[68:69]
	s_delay_alu instid0(VALU_DEP_2)
	v_fma_f64 v[58:59], v[58:59], v[66:67], -v[64:65]
	v_add_co_u32 v64, vcc_lo, v60, s5
	v_add_co_ci_u32_e32 v65, vcc_lo, s4, v61, vcc_lo
	v_add_co_u32 v96, vcc_lo, 0x1000, v102
	v_add_co_ci_u32_e32 v97, vcc_lo, 0, v103, vcc_lo
	v_fma_f64 v[56:57], v[56:57], v[66:67], v[62:63]
	global_load_b128 v[70:73], v[96:97], off offset:944
	global_load_b128 v[60:63], v[64:65], off
	s_waitcnt vmcnt(1)
	scratch_store_b128 off, v[70:73], off offset:424 ; 16-byte Folded Spill
	s_waitcnt vmcnt(0)
	v_mul_f64 v[68:69], v[60:61], v[72:73]
	v_mul_f64 v[66:67], v[62:63], v[72:73]
	s_delay_alu instid0(VALU_DEP_2) | instskip(SKIP_2) | instid1(VALU_DEP_4)
	v_fma_f64 v[62:63], v[62:63], v[70:71], -v[68:69]
	v_add_co_u32 v68, vcc_lo, v64, s3
	v_add_co_ci_u32_e32 v69, vcc_lo, s2, v65, vcc_lo
	v_fma_f64 v[60:61], v[60:61], v[70:71], v[66:67]
	global_load_b128 v[74:77], v[88:89], off offset:1824
	global_load_b128 v[64:67], v[68:69], off
	s_waitcnt vmcnt(1)
	scratch_store_b128 off, v[74:77], off offset:200 ; 16-byte Folded Spill
	s_waitcnt vmcnt(0)
	v_mul_f64 v[72:73], v[64:65], v[76:77]
	v_mul_f64 v[70:71], v[66:67], v[76:77]
	s_delay_alu instid0(VALU_DEP_2) | instskip(SKIP_2) | instid1(VALU_DEP_4)
	v_fma_f64 v[66:67], v[66:67], v[74:75], -v[72:73]
	;; [unrolled: 12-line block ×4, first 2 shown]
	v_add_co_u32 v82, vcc_lo, v76, s3
	v_add_co_ci_u32_e32 v83, vcc_lo, s2, v77, vcc_lo
	v_fma_f64 v[72:73], v[72:73], v[84:85], v[78:79]
	global_load_b128 v[90:93], v[88:89], off offset:2832
	global_load_b128 v[76:79], v[82:83], off
	s_waitcnt vmcnt(1)
	scratch_store_b128 off, v[90:93], off offset:248 ; 16-byte Folded Spill
	s_waitcnt vmcnt(0)
	v_mul_f64 v[84:85], v[78:79], v[92:93]
	v_mul_f64 v[86:87], v[76:77], v[92:93]
	s_delay_alu instid0(VALU_DEP_2)
	v_fma_f64 v[76:77], v[76:77], v[90:91], v[84:85]
	v_add_co_u32 v84, vcc_lo, v82, s3
	v_add_co_ci_u32_e32 v85, vcc_lo, s2, v83, vcc_lo
	global_load_b128 v[92:95], v[80:81], off offset:3712
	global_load_b128 v[80:83], v[84:85], off
	v_fma_f64 v[78:79], v[78:79], v[90:91], -v[86:87]
	s_waitcnt vmcnt(1)
	scratch_store_b128 off, v[92:95], off offset:264 ; 16-byte Folded Spill
	s_waitcnt vmcnt(0)
	v_mul_f64 v[90:91], v[80:81], v[94:95]
	v_mul_f64 v[86:87], v[82:83], v[94:95]
	s_delay_alu instid0(VALU_DEP_2) | instskip(SKIP_2) | instid1(VALU_DEP_4)
	v_fma_f64 v[82:83], v[82:83], v[92:93], -v[90:91]
	v_add_co_u32 v90, vcc_lo, v84, s5
	v_add_co_ci_u32_e32 v91, vcc_lo, s4, v85, vcc_lo
	v_fma_f64 v[80:81], v[80:81], v[92:93], v[86:87]
	global_load_b128 v[104:107], v[96:97], off offset:2960
	global_load_b128 v[84:87], v[90:91], off
	s_waitcnt vmcnt(1)
	scratch_store_b128 off, v[104:107], off offset:280 ; 16-byte Folded Spill
	s_waitcnt vmcnt(0)
	v_mul_f64 v[92:93], v[86:87], v[106:107]
	v_mul_f64 v[94:95], v[84:85], v[106:107]
	s_delay_alu instid0(VALU_DEP_2) | instskip(SKIP_2) | instid1(VALU_DEP_4)
	v_fma_f64 v[84:85], v[84:85], v[104:105], v[92:93]
	v_add_co_u32 v92, vcc_lo, v90, s3
	v_add_co_ci_u32_e32 v93, vcc_lo, s2, v91, vcc_lo
	v_fma_f64 v[86:87], v[86:87], v[104:105], -v[94:95]
	global_load_b128 v[104:107], v[88:89], off offset:3840
	global_load_b128 v[88:91], v[92:93], off
	s_waitcnt vmcnt(1)
	scratch_store_b128 off, v[104:107], off offset:296 ; 16-byte Folded Spill
	s_waitcnt vmcnt(0)
	v_mul_f64 v[98:99], v[88:89], v[106:107]
	v_mul_f64 v[94:95], v[90:91], v[106:107]
	s_delay_alu instid0(VALU_DEP_2) | instskip(SKIP_2) | instid1(VALU_DEP_4)
	v_fma_f64 v[90:91], v[90:91], v[104:105], -v[98:99]
	v_add_co_u32 v98, vcc_lo, v92, s3
	v_add_co_ci_u32_e32 v99, vcc_lo, s2, v93, vcc_lo
	v_fma_f64 v[88:89], v[88:89], v[104:105], v[94:95]
	v_add_co_u32 v104, vcc_lo, 0x6000, v102
	v_add_co_ci_u32_e32 v105, vcc_lo, 0, v103, vcc_lo
	global_load_b128 v[108:111], v[104:105], off offset:624
	global_load_b128 v[92:95], v[98:99], off
	s_waitcnt vmcnt(1)
	scratch_store_b128 off, v[108:111], off offset:312 ; 16-byte Folded Spill
	s_waitcnt vmcnt(0)
	v_mul_f64 v[102:103], v[94:95], v[110:111]
	v_mul_f64 v[106:107], v[92:93], v[110:111]
	s_delay_alu instid0(VALU_DEP_2)
	v_fma_f64 v[92:93], v[92:93], v[108:109], v[102:103]
	v_add_co_u32 v102, vcc_lo, v98, s5
	v_add_co_ci_u32_e32 v103, vcc_lo, s4, v99, vcc_lo
	global_load_b128 v[110:113], v[96:97], off offset:3968
	global_load_b128 v[96:99], v[102:103], off
	v_fma_f64 v[94:95], v[94:95], v[108:109], -v[106:107]
	s_waitcnt vmcnt(1)
	scratch_store_b128 off, v[110:113], off offset:328 ; 16-byte Folded Spill
	s_waitcnt vmcnt(0)
	v_mul_f64 v[106:107], v[98:99], v[112:113]
	v_mul_f64 v[108:109], v[96:97], v[112:113]
	s_delay_alu instid0(VALU_DEP_2)
	v_fma_f64 v[96:97], v[96:97], v[110:111], v[106:107]
	v_add_co_u32 v106, vcc_lo, v102, s3
	v_add_co_ci_u32_e32 v107, vcc_lo, s2, v103, vcc_lo
	global_load_b128 v[112:115], v[100:101], off offset:752
	global_load_b128 v[100:103], v[106:107], off
	v_fma_f64 v[98:99], v[98:99], v[110:111], -v[108:109]
	v_add_co_u32 v106, vcc_lo, v106, s3
	v_add_co_ci_u32_e32 v107, vcc_lo, s2, v107, vcc_lo
	s_mov_b32 s2, 0xe8584caa
	s_mov_b32 s3, 0x3febb67a
	;; [unrolled: 1-line block ×3, first 2 shown]
	v_cmp_gt_u16_e64 vcc_lo, 18, v138
	s_waitcnt vmcnt(1)
	scratch_store_b128 off, v[112:115], off offset:344 ; 16-byte Folded Spill
	s_waitcnt vmcnt(0)
	v_mul_f64 v[108:109], v[102:103], v[114:115]
	v_mul_f64 v[110:111], v[100:101], v[114:115]
	s_delay_alu instid0(VALU_DEP_2) | instskip(NEXT) | instid1(VALU_DEP_2)
	v_fma_f64 v[100:101], v[100:101], v[112:113], v[108:109]
	v_fma_f64 v[102:103], v[102:103], v[112:113], -v[110:111]
	global_load_b128 v[112:115], v[104:105], off offset:1632
	global_load_b128 v[104:107], v[106:107], off
	s_waitcnt vmcnt(1)
	scratch_store_b128 off, v[112:115], off offset:376 ; 16-byte Folded Spill
	s_waitcnt vmcnt(0)
	v_mul_f64 v[108:109], v[106:107], v[114:115]
	v_mul_f64 v[110:111], v[104:105], v[114:115]
	s_delay_alu instid0(VALU_DEP_2) | instskip(NEXT) | instid1(VALU_DEP_2)
	v_fma_f64 v[104:105], v[104:105], v[112:113], v[108:109]
	v_fma_f64 v[106:107], v[106:107], v[112:113], -v[110:111]
	ds_store_b128 v136, v[0:3]
	ds_store_b128 v136, v[4:7] offset:9072
	ds_store_b128 v136, v[8:11] offset:18144
	;; [unrolled: 1-line block ×26, first 2 shown]
	s_load_b128 s[4:7], s[6:7], 0x0
	s_waitcnt lgkmcnt(0)
	s_waitcnt_vscnt null, 0x0
	s_barrier
	buffer_gl0_inv
	ds_load_b128 v[4:7], v136 offset:9072
	ds_load_b128 v[0:3], v136
	ds_load_b128 v[8:11], v136 offset:18144
	s_waitcnt lgkmcnt(1)
	v_add_f64 v[12:13], v[0:1], v[4:5]
	v_add_f64 v[14:15], v[2:3], v[6:7]
	s_waitcnt lgkmcnt(0)
	v_add_f64 v[76:77], v[4:5], v[8:9]
	v_add_f64 v[72:73], v[6:7], -v[10:11]
	v_add_f64 v[78:79], v[6:7], v[10:11]
	v_add_f64 v[74:75], v[4:5], -v[8:9]
	v_add_f64 v[4:5], v[12:13], v[8:9]
	v_add_f64 v[6:7], v[14:15], v[10:11]
	ds_load_b128 v[36:39], v136 offset:1008
	ds_load_b128 v[8:11], v136 offset:10080
	;; [unrolled: 1-line block ×3, first 2 shown]
	v_fma_f64 v[76:77], v[76:77], -0.5, v[0:1]
	v_fma_f64 v[78:79], v[78:79], -0.5, v[2:3]
	s_waitcnt lgkmcnt(1)
	v_add_f64 v[16:17], v[36:37], v[8:9]
	v_add_f64 v[18:19], v[38:39], v[10:11]
	s_waitcnt lgkmcnt(0)
	v_add_f64 v[96:97], v[8:9], v[12:13]
	v_add_f64 v[80:81], v[10:11], -v[14:15]
	v_add_f64 v[98:99], v[10:11], v[14:15]
	v_add_f64 v[82:83], v[8:9], -v[12:13]
	v_fma_f64 v[0:1], v[72:73], s[2:3], v[76:77]
	v_fma_f64 v[2:3], v[74:75], s[12:13], v[78:79]
	v_add_f64 v[8:9], v[16:17], v[12:13]
	v_add_f64 v[10:11], v[18:19], v[14:15]
	ds_load_b128 v[12:15], v136 offset:11088
	ds_load_b128 v[40:43], v136 offset:2016
	ds_load_b128 v[16:19], v136 offset:20160
	v_fma_f64 v[96:97], v[96:97], -0.5, v[36:37]
	v_fma_f64 v[98:99], v[98:99], -0.5, v[38:39]
	v_fma_f64 v[36:37], v[72:73], s[12:13], v[76:77]
	v_fma_f64 v[38:39], v[74:75], s[2:3], v[78:79]
	s_waitcnt lgkmcnt(1)
	v_add_f64 v[20:21], v[40:41], v[12:13]
	v_add_f64 v[22:23], v[42:43], v[14:15]
	s_waitcnt lgkmcnt(0)
	v_add_f64 v[104:105], v[12:13], v[16:17]
	v_add_f64 v[84:85], v[14:15], -v[18:19]
	v_add_f64 v[106:107], v[14:15], v[18:19]
	v_add_f64 v[86:87], v[12:13], -v[16:17]
	v_add_f64 v[12:13], v[20:21], v[16:17]
	v_add_f64 v[14:15], v[22:23], v[18:19]
	ds_load_b128 v[44:47], v136 offset:3024
	ds_load_b128 v[16:19], v136 offset:12096
	ds_load_b128 v[20:23], v136 offset:21168
	v_fma_f64 v[104:105], v[104:105], -0.5, v[40:41]
	v_fma_f64 v[106:107], v[106:107], -0.5, v[42:43]
	v_fma_f64 v[40:41], v[80:81], s[2:3], v[96:97]
	v_fma_f64 v[42:43], v[82:83], s[12:13], v[98:99]
	s_waitcnt lgkmcnt(1)
	v_add_f64 v[24:25], v[44:45], v[16:17]
	v_add_f64 v[26:27], v[46:47], v[18:19]
	s_waitcnt lgkmcnt(0)
	v_add_f64 v[112:113], v[16:17], v[20:21]
	v_add_f64 v[88:89], v[18:19], -v[22:23]
	v_add_f64 v[114:115], v[18:19], v[22:23]
	v_add_f64 v[90:91], v[16:17], -v[20:21]
	;; [unrolled: 17-line block ×4, first 2 shown]
	v_fma_f64 v[72:73], v[92:93], s[12:13], v[116:117]
	v_fma_f64 v[74:75], v[94:95], s[2:3], v[118:119]
	v_add_f64 v[24:25], v[32:33], v[28:29]
	v_add_f64 v[26:27], v[34:35], v[30:31]
	ds_load_b128 v[56:59], v136 offset:6048
	ds_load_b128 v[28:31], v136 offset:15120
	;; [unrolled: 1-line block ×3, first 2 shown]
	v_fma_f64 v[120:121], v[120:121], -0.5, v[52:53]
	v_fma_f64 v[122:123], v[122:123], -0.5, v[54:55]
	v_fma_f64 v[52:53], v[84:85], s[12:13], v[104:105]
	v_fma_f64 v[54:55], v[86:87], s[2:3], v[106:107]
	s_waitcnt lgkmcnt(1)
	v_add_f64 v[60:61], v[56:57], v[28:29]
	v_add_f64 v[62:63], v[58:59], v[30:31]
	s_waitcnt lgkmcnt(0)
	v_add_f64 v[126:127], v[28:29], v[32:33]
	v_add_f64 v[108:109], v[30:31], -v[34:35]
	v_add_f64 v[130:131], v[30:31], v[34:35]
	v_add_f64 v[110:111], v[28:29], -v[32:33]
	v_fma_f64 v[80:81], v[100:101], s[12:13], v[120:121]
	v_fma_f64 v[82:83], v[102:103], s[2:3], v[122:123]
	;; [unrolled: 1-line block ×4, first 2 shown]
	v_add_f64 v[28:29], v[60:61], v[32:33]
	v_add_f64 v[30:31], v[62:63], v[34:35]
	ds_load_b128 v[60:63], v136 offset:7056
	ds_load_b128 v[32:35], v136 offset:16128
	;; [unrolled: 1-line block ×3, first 2 shown]
	v_fma_f64 v[126:127], v[126:127], -0.5, v[56:57]
	v_fma_f64 v[56:57], v[88:89], s[2:3], v[112:113]
	v_fma_f64 v[130:131], v[130:131], -0.5, v[58:59]
	v_fma_f64 v[58:59], v[90:91], s[12:13], v[114:115]
	s_waitcnt lgkmcnt(1)
	v_add_f64 v[68:69], v[60:61], v[32:33]
	v_add_f64 v[70:71], v[62:63], v[34:35]
	s_waitcnt lgkmcnt(0)
	v_add_f64 v[132:133], v[32:33], v[64:65]
	v_add_f64 v[124:125], v[34:35], -v[66:67]
	v_add_f64 v[134:135], v[34:35], v[66:67]
	v_add_f64 v[128:129], v[32:33], -v[64:65]
	v_fma_f64 v[84:85], v[108:109], s[2:3], v[126:127]
	v_fma_f64 v[86:87], v[110:111], s[12:13], v[130:131]
	v_add_f64 v[32:33], v[68:69], v[64:65]
	v_add_f64 v[34:35], v[70:71], v[66:67]
	ds_load_b128 v[64:67], v136 offset:8064
	ds_load_b128 v[68:71], v136 offset:17136
	;; [unrolled: 1-line block ×3, first 2 shown]
	v_fma_f64 v[132:133], v[132:133], -0.5, v[60:61]
	v_fma_f64 v[60:61], v[88:89], s[12:13], v[112:113]
	v_fma_f64 v[88:89], v[108:109], s[12:13], v[126:127]
	v_mul_lo_u16 v108, v138, 3
	v_fma_f64 v[134:135], v[134:135], -0.5, v[62:63]
	v_fma_f64 v[62:63], v[90:91], s[2:3], v[114:115]
	s_waitcnt lgkmcnt(0)
	s_barrier
	v_and_b32_e32 v108, 0xffff, v108
	buffer_gl0_inv
	v_fma_f64 v[90:91], v[110:111], s[2:3], v[130:131]
	v_lshlrev_b32_e32 v108, 4, v108
	ds_store_b128 v108, v[4:7]
	ds_store_b128 v108, v[0:3] offset:16
	v_add_f64 v[143:144], v[64:65], v[68:69]
	v_add_f64 v[145:146], v[66:67], v[70:71]
	;; [unrolled: 1-line block ×4, first 2 shown]
	v_add_co_u32 v6, s14, v180, 63
	v_add_f64 v[151:152], v[70:71], -v[141:142]
	v_add_f64 v[153:154], v[68:69], -v[139:140]
	v_add_co_u32 v5, null, 0x7e, v180
	s_delay_alu instid0(VALU_DEP_4)
	v_mul_u32_u24_e32 v0, 3, v6
	scratch_store_b32 off, v108, off offset:832 ; 4-byte Folded Spill
	ds_store_b128 v108, v[36:39] offset:32
	v_add_co_u32 v4, null, 0xfc, v180
	v_lshlrev_b32_e32 v0, 4, v0
	ds_store_b128 v0, v[8:11]
	ds_store_b128 v0, v[40:43] offset:16
	scratch_store_b32 off, v0, off offset:828 ; 4-byte Folded Spill
	ds_store_b128 v0, v[44:47] offset:32
	v_mul_u32_u24_e32 v0, 3, v5
	v_fma_f64 v[96:97], v[124:125], s[12:13], v[132:133]
	v_fma_f64 v[98:99], v[128:129], s[2:3], v[134:135]
	v_add_co_u32 v3, null, 0x13b, v180
	s_delay_alu instid0(VALU_DEP_4)
	v_lshlrev_b32_e32 v0, 4, v0
	ds_store_b128 v0, v[12:15]
	ds_store_b128 v0, v[48:51] offset:16
	scratch_store_b32 off, v0, off offset:800 ; 4-byte Folded Spill
	ds_store_b128 v0, v[52:55] offset:32
	v_mul_u32_u24_e32 v0, 3, v137
	v_add_co_u32 v2, null, 0x17a, v180
	v_add_f64 v[68:69], v[143:144], v[139:140]
	v_add_f64 v[70:71], v[145:146], v[141:142]
	v_fma_f64 v[139:140], v[147:148], -0.5, v[64:65]
	v_fma_f64 v[141:142], v[149:150], -0.5, v[66:67]
	v_fma_f64 v[64:65], v[92:93], s[2:3], v[116:117]
	v_fma_f64 v[66:67], v[94:95], s[12:13], v[118:119]
	v_lshlrev_b32_e32 v0, 4, v0
	ds_store_b128 v0, v[16:19]
	ds_store_b128 v0, v[56:59] offset:16
	scratch_store_b32 off, v0, off offset:776 ; 4-byte Folded Spill
	ds_store_b128 v0, v[60:63] offset:32
	v_mul_u32_u24_e32 v0, 3, v4
	v_fma_f64 v[92:93], v[124:125], s[2:3], v[132:133]
	v_fma_f64 v[94:95], v[128:129], s[12:13], v[134:135]
	v_add_co_u32 v1, null, 0x1b9, v180
	s_delay_alu instid0(VALU_DEP_4)
	v_lshlrev_b32_e32 v0, 4, v0
	ds_store_b128 v0, v[20:23]
	ds_store_b128 v0, v[64:67] offset:16
	scratch_store_b32 off, v0, off offset:748 ; 4-byte Folded Spill
	ds_store_b128 v0, v[72:75] offset:32
	v_mul_u32_u24_e32 v0, 3, v3
	v_fma_f64 v[104:105], v[151:152], s[12:13], v[139:140]
	v_fma_f64 v[106:107], v[153:154], s[2:3], v[141:142]
	;; [unrolled: 1-line block ×4, first 2 shown]
	v_lshlrev_b32_e32 v0, 4, v0
	ds_store_b128 v0, v[24:27]
	ds_store_b128 v0, v[76:79] offset:16
	scratch_store_b32 off, v0, off offset:724 ; 4-byte Folded Spill
	ds_store_b128 v0, v[80:83] offset:32
	v_mul_u32_u24_e32 v0, 3, v2
	v_and_b32_e32 v14, 0xff, v138
	s_delay_alu instid0(VALU_DEP_2)
	v_lshlrev_b32_e32 v0, 4, v0
	ds_store_b128 v0, v[28:31]
	ds_store_b128 v0, v[84:87] offset:16
	scratch_store_b32 off, v0, off offset:704 ; 4-byte Folded Spill
	ds_store_b128 v0, v[88:91] offset:32
	v_mul_u32_u24_e32 v0, 3, v1
	s_delay_alu instid0(VALU_DEP_1)
	v_lshlrev_b32_e32 v0, 4, v0
	ds_store_b128 v0, v[32:35]
	ds_store_b128 v0, v[92:95] offset:16
	scratch_store_b32 off, v0, off offset:684 ; 4-byte Folded Spill
	ds_store_b128 v0, v[96:99] offset:32
	v_add_co_u32 v0, null, 0x1f8, v180
	s_delay_alu instid0(VALU_DEP_1) | instskip(NEXT) | instid1(VALU_DEP_1)
	v_mul_u32_u24_e32 v7, 3, v0
	v_lshlrev_b32_e32 v7, 4, v7
	ds_store_b128 v7, v[68:71]
	ds_store_b128 v7, v[100:103] offset:16
	scratch_store_b32 off, v7, off offset:664 ; 4-byte Folded Spill
	ds_store_b128 v7, v[104:107] offset:32
	v_mul_lo_u16 v7, 0xab, v14
	s_waitcnt lgkmcnt(0)
	s_waitcnt_vscnt null, 0x0
	s_barrier
	buffer_gl0_inv
	v_lshrrev_b16 v20, 9, v7
	s_delay_alu instid0(VALU_DEP_1) | instskip(SKIP_1) | instid1(VALU_DEP_2)
	v_mul_lo_u16 v7, v20, 3
	v_and_b32_e32 v20, 0xffff, v20
	v_sub_nc_u16 v7, v138, v7
	s_delay_alu instid0(VALU_DEP_2) | instskip(NEXT) | instid1(VALU_DEP_2)
	v_mul_u32_u24_e32 v20, 9, v20
	v_and_b32_e32 v21, 0xff, v7
	ds_load_b128 v[7:10], v136 offset:9072
	v_lshlrev_b32_e32 v13, 5, v21
	v_add_lshl_u32 v20, v20, v21, 4
	global_load_b128 v[15:18], v13, s[10:11]
	s_waitcnt vmcnt(0) lgkmcnt(0)
	v_mul_f64 v[11:12], v[9:10], v[17:18]
	scratch_store_b128 off, v[15:18], off offset:456 ; 16-byte Folded Spill
	v_fma_f64 v[38:39], v[7:8], v[15:16], -v[11:12]
	v_mul_f64 v[7:8], v[7:8], v[17:18]
	s_delay_alu instid0(VALU_DEP_1)
	v_fma_f64 v[40:41], v[9:10], v[15:16], v[7:8]
	global_load_b128 v[15:18], v13, s[10:11] offset:16
	ds_load_b128 v[7:10], v136 offset:18144
	s_waitcnt vmcnt(0) lgkmcnt(0)
	v_mul_f64 v[11:12], v[9:10], v[17:18]
	scratch_store_b128 off, v[15:18], off offset:472 ; 16-byte Folded Spill
	v_fma_f64 v[42:43], v[7:8], v[15:16], -v[11:12]
	v_mul_f64 v[7:8], v[7:8], v[17:18]
	s_delay_alu instid0(VALU_DEP_1) | instskip(SKIP_1) | instid1(VALU_DEP_1)
	v_fma_f64 v[44:45], v[9:10], v[15:16], v[7:8]
	v_and_b32_e32 v15, 0xff, v6
	v_mul_lo_u16 v7, 0xab, v15
	s_delay_alu instid0(VALU_DEP_1) | instskip(NEXT) | instid1(VALU_DEP_1)
	v_lshrrev_b16 v22, 9, v7
	v_mul_lo_u16 v7, v22, 3
	s_delay_alu instid0(VALU_DEP_1) | instskip(NEXT) | instid1(VALU_DEP_1)
	v_sub_nc_u16 v7, v6, v7
	v_and_b32_e32 v23, 0xff, v7
	ds_load_b128 v[7:10], v136 offset:10080
	v_lshlrev_b32_e32 v13, 5, v23
	global_load_b128 v[16:19], v13, s[10:11]
	s_waitcnt vmcnt(0) lgkmcnt(0)
	v_mul_f64 v[11:12], v[9:10], v[18:19]
	scratch_store_b128 off, v[16:19], off offset:488 ; 16-byte Folded Spill
	v_fma_f64 v[50:51], v[7:8], v[16:17], -v[11:12]
	v_mul_f64 v[7:8], v[7:8], v[18:19]
	s_delay_alu instid0(VALU_DEP_1)
	v_fma_f64 v[52:53], v[9:10], v[16:17], v[7:8]
	global_load_b128 v[16:19], v13, s[10:11] offset:16
	ds_load_b128 v[7:10], v136 offset:19152
	v_and_b32_e32 v13, 0xff, v5
	s_waitcnt vmcnt(0) lgkmcnt(0)
	v_mul_f64 v[11:12], v[9:10], v[18:19]
	scratch_store_b128 off, v[16:19], off offset:504 ; 16-byte Folded Spill
	v_fma_f64 v[54:55], v[7:8], v[16:17], -v[11:12]
	v_mul_f64 v[7:8], v[7:8], v[18:19]
	s_delay_alu instid0(VALU_DEP_1) | instskip(SKIP_1) | instid1(VALU_DEP_1)
	v_fma_f64 v[56:57], v[9:10], v[16:17], v[7:8]
	v_mul_lo_u16 v7, 0xab, v13
	v_lshrrev_b16 v24, 9, v7
	s_delay_alu instid0(VALU_DEP_1) | instskip(NEXT) | instid1(VALU_DEP_1)
	v_mul_lo_u16 v7, v24, 3
	v_sub_nc_u16 v7, v5, v7
	s_delay_alu instid0(VALU_DEP_1)
	v_and_b32_e32 v25, 0xff, v7
	ds_load_b128 v[7:10], v136 offset:11088
	v_lshlrev_b32_e32 v16, 5, v25
	s_clause 0x1
	global_load_b128 v[26:29], v16, s[10:11]
	global_load_b128 v[16:19], v16, s[10:11] offset:16
	s_waitcnt vmcnt(1) lgkmcnt(0)
	v_mul_f64 v[11:12], v[9:10], v[28:29]
	scratch_store_b128 off, v[26:29], off offset:520 ; 16-byte Folded Spill
	s_waitcnt vmcnt(0)
	scratch_store_b128 off, v[16:19], off offset:536 ; 16-byte Folded Spill
	v_fma_f64 v[62:63], v[7:8], v[26:27], -v[11:12]
	v_mul_f64 v[7:8], v[7:8], v[28:29]
	s_delay_alu instid0(VALU_DEP_1) | instskip(SKIP_3) | instid1(VALU_DEP_1)
	v_fma_f64 v[64:65], v[9:10], v[26:27], v[7:8]
	ds_load_b128 v[7:10], v136 offset:20160
	s_waitcnt lgkmcnt(0)
	v_mul_f64 v[11:12], v[9:10], v[18:19]
	v_fma_f64 v[66:67], v[7:8], v[16:17], -v[11:12]
	v_mul_f64 v[7:8], v[7:8], v[18:19]
	v_and_b32_e32 v12, 0xff, v137
	s_delay_alu instid0(VALU_DEP_3) | instskip(NEXT) | instid1(VALU_DEP_3)
	v_add_f64 v[70:71], v[62:63], v[66:67]
	v_fma_f64 v[68:69], v[9:10], v[16:17], v[7:8]
	s_delay_alu instid0(VALU_DEP_3) | instskip(NEXT) | instid1(VALU_DEP_1)
	v_mul_lo_u16 v7, 0xab, v12
	v_lshrrev_b16 v26, 9, v7
	s_delay_alu instid0(VALU_DEP_1) | instskip(NEXT) | instid1(VALU_DEP_1)
	v_mul_lo_u16 v7, v26, 3
	v_sub_nc_u16 v7, v137, v7
	s_delay_alu instid0(VALU_DEP_1)
	v_and_b32_e32 v27, 0xff, v7
	ds_load_b128 v[7:10], v136 offset:12096
	v_lshlrev_b32_e32 v11, 5, v27
	global_load_b128 v[28:31], v11, s[10:11]
	v_add_f64 v[72:73], v[64:65], v[68:69]
	s_waitcnt vmcnt(0) lgkmcnt(0)
	v_mul_f64 v[16:17], v[9:10], v[30:31]
	scratch_store_b128 off, v[28:31], off offset:552 ; 16-byte Folded Spill
	v_fma_f64 v[74:75], v[7:8], v[28:29], -v[16:17]
	v_mul_f64 v[7:8], v[7:8], v[30:31]
	s_delay_alu instid0(VALU_DEP_1)
	v_fma_f64 v[76:77], v[9:10], v[28:29], v[7:8]
	global_load_b128 v[28:31], v11, s[10:11] offset:16
	ds_load_b128 v[7:10], v136 offset:21168
	v_and_b32_e32 v11, 0xffff, v4
	s_waitcnt vmcnt(0) lgkmcnt(0)
	v_mul_f64 v[16:17], v[9:10], v[30:31]
	scratch_store_b128 off, v[28:31], off offset:568 ; 16-byte Folded Spill
	v_fma_f64 v[78:79], v[7:8], v[28:29], -v[16:17]
	v_mul_f64 v[7:8], v[7:8], v[30:31]
	s_delay_alu instid0(VALU_DEP_2) | instskip(NEXT) | instid1(VALU_DEP_2)
	v_add_f64 v[82:83], v[74:75], v[78:79]
	v_fma_f64 v[80:81], v[9:10], v[28:29], v[7:8]
	v_mul_u32_u24_e32 v7, 0xaaab, v11
	s_delay_alu instid0(VALU_DEP_1) | instskip(NEXT) | instid1(VALU_DEP_1)
	v_lshrrev_b32_e32 v28, 17, v7
	v_mul_lo_u16 v7, v28, 3
	s_delay_alu instid0(VALU_DEP_1) | instskip(NEXT) | instid1(VALU_DEP_1)
	v_sub_nc_u16 v29, v4, v7
	v_lshlrev_b16 v7, 1, v29
	s_delay_alu instid0(VALU_DEP_1) | instskip(NEXT) | instid1(VALU_DEP_1)
	v_and_b32_e32 v7, 0xffff, v7
	v_lshlrev_b32_e32 v18, 4, v7
	ds_load_b128 v[7:10], v136 offset:13104
	global_load_b128 v[30:33], v18, s[10:11]
	v_add_f64 v[84:85], v[76:77], v[80:81]
	s_waitcnt vmcnt(0) lgkmcnt(0)
	v_mul_f64 v[16:17], v[9:10], v[32:33]
	scratch_store_b128 off, v[30:33], off offset:584 ; 16-byte Folded Spill
	v_fma_f64 v[86:87], v[7:8], v[30:31], -v[16:17]
	v_mul_f64 v[7:8], v[7:8], v[32:33]
	s_delay_alu instid0(VALU_DEP_1)
	v_fma_f64 v[88:89], v[9:10], v[30:31], v[7:8]
	global_load_b128 v[30:33], v18, s[10:11] offset:16
	ds_load_b128 v[7:10], v136 offset:22176
	s_waitcnt vmcnt(0) lgkmcnt(0)
	v_mul_f64 v[16:17], v[9:10], v[32:33]
	scratch_store_b128 off, v[30:33], off offset:600 ; 16-byte Folded Spill
	v_fma_f64 v[90:91], v[7:8], v[30:31], -v[16:17]
	v_mul_f64 v[7:8], v[7:8], v[32:33]
	ds_load_b128 v[16:19], v136 offset:14112
	v_add_f64 v[94:95], v[86:87], v[90:91]
	v_fma_f64 v[92:93], v[9:10], v[30:31], v[7:8]
	v_and_b32_e32 v10, 0xffff, v3
	s_delay_alu instid0(VALU_DEP_1) | instskip(NEXT) | instid1(VALU_DEP_1)
	v_mul_u32_u24_e32 v7, 0xaaab, v10
	v_lshrrev_b32_e32 v30, 17, v7
	s_delay_alu instid0(VALU_DEP_1) | instskip(NEXT) | instid1(VALU_DEP_1)
	v_mul_lo_u16 v7, v30, 3
	v_sub_nc_u16 v31, v3, v7
	s_delay_alu instid0(VALU_DEP_1) | instskip(NEXT) | instid1(VALU_DEP_1)
	v_lshlrev_b16 v7, 1, v31
	v_and_b32_e32 v7, 0xffff, v7
	s_delay_alu instid0(VALU_DEP_1)
	v_lshlrev_b32_e32 v9, 4, v7
	v_add_f64 v[96:97], v[88:89], v[92:93]
	global_load_b128 v[32:35], v9, s[10:11]
	s_waitcnt vmcnt(0) lgkmcnt(0)
	v_mul_f64 v[7:8], v[18:19], v[34:35]
	scratch_store_b128 off, v[32:35], off offset:616 ; 16-byte Folded Spill
	v_fma_f64 v[98:99], v[16:17], v[32:33], -v[7:8]
	v_mul_f64 v[7:8], v[16:17], v[34:35]
	s_delay_alu instid0(VALU_DEP_1)
	v_fma_f64 v[100:101], v[18:19], v[32:33], v[7:8]
	global_load_b128 v[32:35], v9, s[10:11] offset:16
	ds_load_b128 v[16:19], v136 offset:23184
	v_and_b32_e32 v9, 0xffff, v2
	s_waitcnt vmcnt(0) lgkmcnt(0)
	v_mul_f64 v[7:8], v[18:19], v[34:35]
	scratch_store_b128 off, v[32:35], off offset:632 ; 16-byte Folded Spill
	v_fma_f64 v[102:103], v[16:17], v[32:33], -v[7:8]
	v_mul_f64 v[7:8], v[16:17], v[34:35]
	s_delay_alu instid0(VALU_DEP_2) | instskip(NEXT) | instid1(VALU_DEP_2)
	v_add_f64 v[106:107], v[98:99], v[102:103]
	v_fma_f64 v[104:105], v[18:19], v[32:33], v[7:8]
	v_mul_u32_u24_e32 v7, 0xaaab, v9
	ds_load_b128 v[16:19], v136 offset:15120
	v_lshrrev_b32_e32 v32, 17, v7
	s_delay_alu instid0(VALU_DEP_1) | instskip(NEXT) | instid1(VALU_DEP_1)
	v_mul_lo_u16 v7, v32, 3
	v_sub_nc_u16 v33, v2, v7
	s_delay_alu instid0(VALU_DEP_1) | instskip(NEXT) | instid1(VALU_DEP_1)
	v_lshlrev_b16 v7, 1, v33
	v_and_b32_e32 v7, 0xffff, v7
	s_delay_alu instid0(VALU_DEP_1)
	v_lshlrev_b32_e32 v34, 4, v7
	s_clause 0x1
	global_load_b128 v[46:49], v34, s[10:11]
	global_load_b128 v[34:37], v34, s[10:11] offset:16
	v_add_f64 v[108:109], v[100:101], v[104:105]
	s_waitcnt vmcnt(1) lgkmcnt(0)
	v_mul_f64 v[7:8], v[18:19], v[48:49]
	scratch_store_b128 off, v[46:49], off offset:648 ; 16-byte Folded Spill
	s_waitcnt vmcnt(0)
	scratch_store_b128 off, v[34:37], off offset:668 ; 16-byte Folded Spill
	v_fma_f64 v[110:111], v[16:17], v[46:47], -v[7:8]
	v_mul_f64 v[7:8], v[16:17], v[48:49]
	s_delay_alu instid0(VALU_DEP_1) | instskip(SKIP_3) | instid1(VALU_DEP_1)
	v_fma_f64 v[112:113], v[18:19], v[46:47], v[7:8]
	ds_load_b128 v[16:19], v136 offset:24192
	s_waitcnt lgkmcnt(0)
	v_mul_f64 v[7:8], v[18:19], v[36:37]
	v_fma_f64 v[114:115], v[16:17], v[34:35], -v[7:8]
	v_mul_f64 v[7:8], v[16:17], v[36:37]
	s_delay_alu instid0(VALU_DEP_2) | instskip(NEXT) | instid1(VALU_DEP_2)
	v_add_f64 v[118:119], v[110:111], v[114:115]
	v_fma_f64 v[116:117], v[18:19], v[34:35], v[7:8]
	v_and_b32_e32 v8, 0xffff, v1
	ds_load_b128 v[34:37], v136 offset:16128
	v_mul_u32_u24_e32 v7, 0xaaab, v8
	s_delay_alu instid0(VALU_DEP_1) | instskip(NEXT) | instid1(VALU_DEP_1)
	v_lshrrev_b32_e32 v16, 17, v7
	v_mul_lo_u16 v7, v16, 3
	s_delay_alu instid0(VALU_DEP_1) | instskip(NEXT) | instid1(VALU_DEP_1)
	v_sub_nc_u16 v17, v1, v7
	v_lshlrev_b16 v7, 1, v17
	v_mad_u16 v16, v16, 9, v17
	s_delay_alu instid0(VALU_DEP_2) | instskip(NEXT) | instid1(VALU_DEP_2)
	v_and_b32_e32 v7, 0xffff, v7
	v_and_b32_e32 v16, 0xffff, v16
	s_delay_alu instid0(VALU_DEP_2) | instskip(NEXT) | instid1(VALU_DEP_2)
	v_lshlrev_b32_e32 v7, 4, v7
	v_lshlrev_b32_e32 v16, 4, v16
	v_add_f64 v[120:121], v[112:113], v[116:117]
	global_load_b128 v[46:49], v7, s[10:11]
	s_waitcnt vmcnt(0) lgkmcnt(0)
	v_mul_f64 v[18:19], v[36:37], v[48:49]
	scratch_store_b128 off, v[46:49], off offset:688 ; 16-byte Folded Spill
	v_fma_f64 v[122:123], v[34:35], v[46:47], -v[18:19]
	v_mul_f64 v[18:19], v[34:35], v[48:49]
	s_delay_alu instid0(VALU_DEP_1)
	v_fma_f64 v[124:125], v[36:37], v[46:47], v[18:19]
	global_load_b128 v[46:49], v7, s[10:11] offset:16
	ds_load_b128 v[34:37], v136 offset:25200
	v_and_b32_e32 v7, 0xffff, v0
	s_waitcnt vmcnt(0) lgkmcnt(0)
	v_mul_f64 v[18:19], v[36:37], v[48:49]
	scratch_store_b128 off, v[46:49], off offset:708 ; 16-byte Folded Spill
	v_fma_f64 v[126:127], v[34:35], v[46:47], -v[18:19]
	v_mul_f64 v[18:19], v[34:35], v[48:49]
	s_delay_alu instid0(VALU_DEP_2) | instskip(NEXT) | instid1(VALU_DEP_2)
	v_add_f64 v[130:131], v[122:123], v[126:127]
	v_fma_f64 v[128:129], v[36:37], v[46:47], v[18:19]
	v_mul_u32_u24_e32 v18, 0xaaab, v7
	s_delay_alu instid0(VALU_DEP_1) | instskip(NEXT) | instid1(VALU_DEP_1)
	v_lshrrev_b32_e32 v18, 17, v18
	v_mul_lo_u16 v19, v18, 3
	s_delay_alu instid0(VALU_DEP_1) | instskip(NEXT) | instid1(VALU_DEP_1)
	v_sub_nc_u16 v19, v0, v19
	v_lshlrev_b16 v34, 1, v19
	s_delay_alu instid0(VALU_DEP_1) | instskip(NEXT) | instid1(VALU_DEP_1)
	v_and_b32_e32 v34, 0xffff, v34
	v_lshlrev_b32_e32 v48, 4, v34
	ds_load_b128 v[34:37], v136 offset:17136
	global_load_b128 v[58:61], v48, s[10:11]
	v_add_f64 v[132:133], v[124:125], v[128:129]
	s_waitcnt vmcnt(0) lgkmcnt(0)
	v_mul_f64 v[46:47], v[36:37], v[60:61]
	scratch_store_b128 off, v[58:61], off offset:728 ; 16-byte Folded Spill
	v_fma_f64 v[134:135], v[34:35], v[58:59], -v[46:47]
	v_mul_f64 v[34:35], v[34:35], v[60:61]
	s_delay_alu instid0(VALU_DEP_1)
	v_fma_f64 v[139:140], v[36:37], v[58:59], v[34:35]
	global_load_b128 v[58:61], v48, s[10:11] offset:16
	ds_load_b128 v[34:37], v136 offset:26208
	v_add_f64 v[48:49], v[40:41], v[44:45]
	s_waitcnt vmcnt(0) lgkmcnt(0)
	v_mul_f64 v[46:47], v[36:37], v[60:61]
	scratch_store_b128 off, v[58:61], off offset:756 ; 16-byte Folded Spill
	v_fma_f64 v[141:142], v[34:35], v[58:59], -v[46:47]
	v_mul_f64 v[34:35], v[34:35], v[60:61]
	v_add_f64 v[46:47], v[38:39], v[42:43]
	v_add_f64 v[60:61], v[52:53], v[56:57]
	s_delay_alu instid0(VALU_DEP_4) | instskip(NEXT) | instid1(VALU_DEP_4)
	v_add_f64 v[145:146], v[134:135], v[141:142]
	v_fma_f64 v[143:144], v[36:37], v[58:59], v[34:35]
	ds_load_b128 v[34:37], v136
	v_add_f64 v[58:59], v[50:51], v[54:55]
	s_waitcnt lgkmcnt(0)
	v_fma_f64 v[48:49], v[48:49], -0.5, v[36:37]
	v_add_f64 v[36:37], v[36:37], v[40:41]
	v_fma_f64 v[46:47], v[46:47], -0.5, v[34:35]
	v_add_f64 v[34:35], v[34:35], v[38:39]
	v_add_f64 v[40:41], v[40:41], -v[44:45]
	v_add_f64 v[147:148], v[139:140], v[143:144]
	v_add_f64 v[149:150], v[139:140], -v[143:144]
	;; [unrolled: 2-line block ×3, first 2 shown]
	v_add_f64 v[34:35], v[34:35], v[42:43]
	v_fma_f64 v[38:39], v[40:41], s[2:3], v[46:47]
	v_fma_f64 v[42:43], v[40:41], s[12:13], v[46:47]
	s_delay_alu instid0(VALU_DEP_4)
	v_fma_f64 v[40:41], v[44:45], s[12:13], v[48:49]
	v_fma_f64 v[44:45], v[44:45], s[2:3], v[48:49]
	ds_load_b128 v[46:49], v136 offset:1008
	s_waitcnt lgkmcnt(0)
	v_fma_f64 v[60:61], v[60:61], -0.5, v[48:49]
	v_add_f64 v[48:49], v[48:49], v[52:53]
	v_fma_f64 v[58:59], v[58:59], -0.5, v[46:47]
	v_add_f64 v[46:47], v[46:47], v[50:51]
	v_add_f64 v[52:53], v[52:53], -v[56:57]
	s_delay_alu instid0(VALU_DEP_4) | instskip(SKIP_1) | instid1(VALU_DEP_4)
	v_add_f64 v[48:49], v[48:49], v[56:57]
	v_add_f64 v[56:57], v[50:51], -v[54:55]
	v_add_f64 v[46:47], v[46:47], v[54:55]
	s_delay_alu instid0(VALU_DEP_4) | instskip(SKIP_1) | instid1(VALU_DEP_4)
	v_fma_f64 v[50:51], v[52:53], s[2:3], v[58:59]
	v_fma_f64 v[54:55], v[52:53], s[12:13], v[58:59]
	v_fma_f64 v[52:53], v[56:57], s[12:13], v[60:61]
	v_fma_f64 v[56:57], v[56:57], s[2:3], v[60:61]
	ds_load_b128 v[58:61], v136 offset:2016
	s_waitcnt lgkmcnt(0)
	v_fma_f64 v[72:73], v[72:73], -0.5, v[60:61]
	v_add_f64 v[60:61], v[60:61], v[64:65]
	v_fma_f64 v[70:71], v[70:71], -0.5, v[58:59]
	v_add_f64 v[58:59], v[58:59], v[62:63]
	v_add_f64 v[64:65], v[64:65], -v[68:69]
	s_delay_alu instid0(VALU_DEP_4) | instskip(SKIP_1) | instid1(VALU_DEP_4)
	v_add_f64 v[60:61], v[60:61], v[68:69]
	v_add_f64 v[68:69], v[62:63], -v[66:67]
	v_add_f64 v[58:59], v[58:59], v[66:67]
	s_delay_alu instid0(VALU_DEP_4) | instskip(SKIP_1) | instid1(VALU_DEP_4)
	v_fma_f64 v[62:63], v[64:65], s[2:3], v[70:71]
	v_fma_f64 v[66:67], v[64:65], s[12:13], v[70:71]
	;; [unrolled: 16-line block ×7, first 2 shown]
	v_fma_f64 v[124:125], v[128:129], s[12:13], v[132:133]
	v_fma_f64 v[128:129], v[128:129], s[2:3], v[132:133]
	ds_load_b128 v[130:133], v136 offset:8064
	s_waitcnt lgkmcnt(0)
	s_waitcnt_vscnt null, 0x0
	s_barrier
	buffer_gl0_inv
	ds_store_b128 v20, v[34:37]
	ds_store_b128 v20, v[38:41] offset:48
	scratch_store_b32 off, v20, off offset:836 ; 4-byte Folded Spill
	ds_store_b128 v20, v[42:45] offset:96
	v_and_b32_e32 v20, 0xffff, v22
	s_delay_alu instid0(VALU_DEP_1) | instskip(NEXT) | instid1(VALU_DEP_1)
	v_mul_u32_u24_e32 v20, 9, v20
	v_add_lshl_u32 v20, v20, v23, 4
	ds_store_b128 v20, v[46:49]
	ds_store_b128 v20, v[50:53] offset:48
	scratch_store_b32 off, v20, off offset:824 ; 4-byte Folded Spill
	ds_store_b128 v20, v[54:57] offset:96
	v_and_b32_e32 v20, 0xffff, v24
	v_fma_f64 v[145:146], v[145:146], -0.5, v[130:131]
	v_fma_f64 v[147:148], v[147:148], -0.5, v[132:133]
	v_add_f64 v[132:133], v[132:133], v[139:140]
	v_add_f64 v[130:131], v[130:131], v[134:135]
	v_mul_u32_u24_e32 v20, 9, v20
	v_add_f64 v[134:135], v[134:135], -v[141:142]
	s_delay_alu instid0(VALU_DEP_2)
	v_add_lshl_u32 v20, v20, v25, 4
	ds_store_b128 v20, v[58:61]
	ds_store_b128 v20, v[62:65] offset:48
	scratch_store_b32 off, v20, off offset:804 ; 4-byte Folded Spill
	ds_store_b128 v20, v[66:69] offset:96
	v_and_b32_e32 v20, 0xffff, v26
	s_delay_alu instid0(VALU_DEP_1) | instskip(NEXT) | instid1(VALU_DEP_1)
	v_mul_u32_u24_e32 v20, 9, v20
	v_add_lshl_u32 v20, v20, v27, 4
	ds_store_b128 v20, v[70:73]
	ds_store_b128 v20, v[74:77] offset:48
	scratch_store_b32 off, v20, off offset:796 ; 4-byte Folded Spill
	ds_store_b128 v20, v[78:81] offset:96
	v_mad_u16 v20, v28, 9, v29
	v_fma_f64 v[139:140], v[149:150], s[2:3], v[145:146]
	s_delay_alu instid0(VALU_DEP_2)
	v_and_b32_e32 v20, 0xffff, v20
	v_add_f64 v[132:133], v[132:133], v[143:144]
	v_add_f64 v[130:131], v[130:131], v[141:142]
	v_fma_f64 v[143:144], v[149:150], s[12:13], v[145:146]
	v_fma_f64 v[145:146], v[134:135], s[2:3], v[147:148]
	v_lshlrev_b32_e32 v20, 4, v20
	ds_store_b128 v20, v[82:85]
	ds_store_b128 v20, v[86:89] offset:48
	scratch_store_b32 off, v20, off offset:772 ; 4-byte Folded Spill
	ds_store_b128 v20, v[90:93] offset:96
	v_mad_u16 v20, v30, 9, v31
	v_fma_f64 v[141:142], v[134:135], s[12:13], v[147:148]
	s_delay_alu instid0(VALU_DEP_2) | instskip(NEXT) | instid1(VALU_DEP_1)
	v_and_b32_e32 v20, 0xffff, v20
	v_lshlrev_b32_e32 v20, 4, v20
	ds_store_b128 v20, v[94:97]
	ds_store_b128 v20, v[98:101] offset:48
	scratch_store_b32 off, v20, off offset:752 ; 4-byte Folded Spill
	ds_store_b128 v20, v[102:105] offset:96
	v_mad_u16 v20, v32, 9, v33
	s_delay_alu instid0(VALU_DEP_1) | instskip(NEXT) | instid1(VALU_DEP_1)
	v_and_b32_e32 v20, 0xffff, v20
	v_lshlrev_b32_e32 v20, 4, v20
	ds_store_b128 v20, v[106:109]
	ds_store_b128 v20, v[110:113] offset:48
	scratch_store_b32 off, v20, off offset:744 ; 4-byte Folded Spill
	ds_store_b128 v20, v[114:117] offset:96
	ds_store_b128 v16, v[118:121]
	ds_store_b128 v16, v[122:125] offset:48
	scratch_store_b32 off, v16, off offset:1624 ; 4-byte Folded Spill
	ds_store_b128 v16, v[126:129] offset:96
	v_mad_u16 v16, v18, 9, v19
	s_delay_alu instid0(VALU_DEP_1) | instskip(NEXT) | instid1(VALU_DEP_1)
	v_and_b32_e32 v16, 0xffff, v16
	v_lshlrev_b32_e32 v16, 4, v16
	ds_store_b128 v16, v[130:133]
	ds_store_b128 v16, v[139:142] offset:48
	scratch_store_b32 off, v16, off offset:1564 ; 4-byte Folded Spill
	ds_store_b128 v16, v[143:146] offset:96
	v_mul_lo_u16 v16, v14, 57
	s_waitcnt lgkmcnt(0)
	s_waitcnt_vscnt null, 0x0
	s_barrier
	buffer_gl0_inv
	ds_load_b128 v[18:21], v136 offset:9072
	v_lshrrev_b16 v16, 9, v16
	v_mul_lo_u16 v14, v14, 19
	ds_load_b128 v[108:111], v136 offset:6048
	ds_load_b128 v[124:127], v136 offset:7056
	;; [unrolled: 1-line block ×3, first 2 shown]
	v_mul_lo_u16 v17, v16, 9
	v_mul_lo_u16 v16, v16, 27
	v_lshrrev_b16 v14, 9, v14
	s_delay_alu instid0(VALU_DEP_3) | instskip(NEXT) | instid1(VALU_DEP_3)
	v_sub_nc_u16 v17, v138, v17
	v_and_b32_e32 v16, 0xff, v16
	s_delay_alu instid0(VALU_DEP_2) | instskip(NEXT) | instid1(VALU_DEP_1)
	v_and_b32_e32 v17, 0xff, v17
	v_lshlrev_b32_e32 v24, 5, v17
	s_delay_alu instid0(VALU_DEP_3)
	v_add_lshl_u32 v16, v16, v17, 4
	global_load_b128 v[25:28], v24, s[10:11] offset:96
	s_waitcnt vmcnt(0) lgkmcnt(3)
	v_mul_f64 v[22:23], v[20:21], v[27:28]
	scratch_store_b128 off, v[25:28], off offset:780 ; 16-byte Folded Spill
	v_fma_f64 v[36:37], v[18:19], v[25:26], -v[22:23]
	v_mul_f64 v[18:19], v[18:19], v[27:28]
	s_delay_alu instid0(VALU_DEP_1)
	v_fma_f64 v[38:39], v[20:21], v[25:26], v[18:19]
	global_load_b128 v[24:27], v24, s[10:11] offset:112
	ds_load_b128 v[18:21], v136 offset:18144
	s_waitcnt vmcnt(0) lgkmcnt(0)
	v_mul_f64 v[22:23], v[20:21], v[26:27]
	scratch_store_b128 off, v[24:27], off offset:808 ; 16-byte Folded Spill
	v_fma_f64 v[40:41], v[18:19], v[24:25], -v[22:23]
	v_mul_f64 v[18:19], v[18:19], v[26:27]
	s_delay_alu instid0(VALU_DEP_1) | instskip(SKIP_4) | instid1(VALU_DEP_2)
	v_fma_f64 v[42:43], v[20:21], v[24:25], v[18:19]
	v_mul_lo_u16 v18, v15, 57
	ds_load_b128 v[20:23], v136 offset:10080
	v_mul_lo_u16 v15, v15, 19
	v_lshrrev_b16 v18, 9, v18
	v_lshrrev_b16 v15, 9, v15
	s_delay_alu instid0(VALU_DEP_2) | instskip(NEXT) | instid1(VALU_DEP_1)
	v_mul_lo_u16 v19, v18, 9
	v_sub_nc_u16 v19, v6, v19
	s_delay_alu instid0(VALU_DEP_1) | instskip(NEXT) | instid1(VALU_DEP_1)
	v_and_b32_e32 v19, 0xff, v19
	v_lshlrev_b32_e32 v26, 5, v19
	global_load_b128 v[27:30], v26, s[10:11] offset:96
	s_waitcnt vmcnt(0) lgkmcnt(0)
	v_mul_f64 v[24:25], v[22:23], v[29:30]
	scratch_store_b128 off, v[27:30], off offset:840 ; 16-byte Folded Spill
	v_fma_f64 v[48:49], v[20:21], v[27:28], -v[24:25]
	v_mul_f64 v[20:21], v[20:21], v[29:30]
	s_delay_alu instid0(VALU_DEP_1)
	v_fma_f64 v[50:51], v[22:23], v[27:28], v[20:21]
	global_load_b128 v[26:29], v26, s[10:11] offset:112
	ds_load_b128 v[20:23], v136 offset:19152
	s_waitcnt vmcnt(0) lgkmcnt(0)
	v_mul_f64 v[24:25], v[22:23], v[28:29]
	scratch_store_b128 off, v[26:29], off offset:856 ; 16-byte Folded Spill
	v_fma_f64 v[52:53], v[20:21], v[26:27], -v[24:25]
	v_mul_f64 v[20:21], v[20:21], v[28:29]
	s_delay_alu instid0(VALU_DEP_1) | instskip(SKIP_3) | instid1(VALU_DEP_1)
	v_fma_f64 v[54:55], v[22:23], v[26:27], v[20:21]
	v_mul_lo_u16 v20, v13, 57
	ds_load_b128 v[22:25], v136 offset:11088
	v_lshrrev_b16 v20, 9, v20
	v_mul_lo_u16 v21, v20, 9
	s_delay_alu instid0(VALU_DEP_1) | instskip(NEXT) | instid1(VALU_DEP_1)
	v_sub_nc_u16 v21, v5, v21
	v_and_b32_e32 v21, 0xff, v21
	s_delay_alu instid0(VALU_DEP_1)
	v_lshlrev_b32_e32 v28, 5, v21
	global_load_b128 v[29:32], v28, s[10:11] offset:96
	s_waitcnt vmcnt(0) lgkmcnt(0)
	v_mul_f64 v[26:27], v[24:25], v[31:32]
	scratch_store_b128 off, v[29:32], off offset:872 ; 16-byte Folded Spill
	v_fma_f64 v[60:61], v[22:23], v[29:30], -v[26:27]
	v_mul_f64 v[22:23], v[22:23], v[31:32]
	s_delay_alu instid0(VALU_DEP_1)
	v_fma_f64 v[62:63], v[24:25], v[29:30], v[22:23]
	global_load_b128 v[28:31], v28, s[10:11] offset:112
	ds_load_b128 v[22:25], v136 offset:20160
	s_waitcnt vmcnt(0) lgkmcnt(0)
	v_mul_f64 v[26:27], v[24:25], v[30:31]
	scratch_store_b128 off, v[28:31], off offset:888 ; 16-byte Folded Spill
	v_fma_f64 v[64:65], v[22:23], v[28:29], -v[26:27]
	v_mul_f64 v[22:23], v[22:23], v[30:31]
	s_delay_alu instid0(VALU_DEP_2) | instskip(NEXT) | instid1(VALU_DEP_2)
	v_add_f64 v[68:69], v[60:61], v[64:65]
	v_fma_f64 v[66:67], v[24:25], v[28:29], v[22:23]
	v_mul_lo_u16 v22, v12, 57
	ds_load_b128 v[24:27], v136 offset:12096
	v_lshrrev_b16 v22, 9, v22
	s_delay_alu instid0(VALU_DEP_1) | instskip(NEXT) | instid1(VALU_DEP_1)
	v_mul_lo_u16 v23, v22, 9
	v_sub_nc_u16 v23, v137, v23
	s_delay_alu instid0(VALU_DEP_1) | instskip(NEXT) | instid1(VALU_DEP_1)
	v_and_b32_e32 v23, 0xff, v23
	v_lshlrev_b32_e32 v30, 5, v23
	global_load_b128 v[31:34], v30, s[10:11] offset:96
	v_add_f64 v[70:71], v[62:63], v[66:67]
	s_waitcnt vmcnt(0) lgkmcnt(0)
	v_mul_f64 v[28:29], v[26:27], v[33:34]
	scratch_store_b128 off, v[31:34], off offset:904 ; 16-byte Folded Spill
	v_fma_f64 v[72:73], v[24:25], v[31:32], -v[28:29]
	v_mul_f64 v[24:25], v[24:25], v[33:34]
	s_delay_alu instid0(VALU_DEP_1)
	v_fma_f64 v[74:75], v[26:27], v[31:32], v[24:25]
	global_load_b128 v[30:33], v30, s[10:11] offset:112
	ds_load_b128 v[24:27], v136 offset:21168
	s_waitcnt vmcnt(0) lgkmcnt(0)
	v_mul_f64 v[28:29], v[26:27], v[32:33]
	scratch_store_b128 off, v[30:33], off offset:920 ; 16-byte Folded Spill
	v_fma_f64 v[76:77], v[24:25], v[30:31], -v[28:29]
	v_mul_f64 v[24:25], v[24:25], v[32:33]
	s_delay_alu instid0(VALU_DEP_2) | instskip(NEXT) | instid1(VALU_DEP_2)
	v_add_f64 v[80:81], v[72:73], v[76:77]
	v_fma_f64 v[78:79], v[26:27], v[30:31], v[24:25]
	v_mul_u32_u24_e32 v24, 0xe38f, v11
	s_delay_alu instid0(VALU_DEP_1) | instskip(NEXT) | instid1(VALU_DEP_1)
	v_lshrrev_b32_e32 v24, 19, v24
	v_mul_lo_u16 v25, v24, 9
	s_delay_alu instid0(VALU_DEP_1) | instskip(NEXT) | instid1(VALU_DEP_1)
	v_sub_nc_u16 v25, v4, v25
	v_lshlrev_b16 v26, 5, v25
	s_delay_alu instid0(VALU_DEP_1) | instskip(NEXT) | instid1(VALU_DEP_1)
	v_and_b32_e32 v26, 0xffff, v26
	v_add_co_u32 v30, s15, s10, v26
	s_delay_alu instid0(VALU_DEP_1)
	v_add_co_ci_u32_e64 v31, null, s11, 0, s15
	ds_load_b128 v[26:29], v136 offset:13104
	global_load_b128 v[44:47], v[30:31], off offset:96
	v_add_f64 v[82:83], v[74:75], v[78:79]
	s_waitcnt vmcnt(0) lgkmcnt(0)
	v_mul_f64 v[32:33], v[28:29], v[46:47]
	s_delay_alu instid0(VALU_DEP_1)
	v_fma_f64 v[84:85], v[26:27], v[44:45], -v[32:33]
	global_load_b128 v[32:35], v[30:31], off offset:112
	v_mul_f64 v[26:27], v[26:27], v[46:47]
	scratch_store_b128 off, v[44:47], off offset:936 ; 16-byte Folded Spill
	v_fma_f64 v[86:87], v[28:29], v[44:45], v[26:27]
	ds_load_b128 v[26:29], v136 offset:22176
	s_waitcnt vmcnt(0)
	scratch_store_b128 off, v[32:35], off offset:972 ; 16-byte Folded Spill
	s_waitcnt lgkmcnt(0)
	v_mul_f64 v[30:31], v[28:29], v[34:35]
	s_delay_alu instid0(VALU_DEP_1) | instskip(SKIP_1) | instid1(VALU_DEP_2)
	v_fma_f64 v[88:89], v[26:27], v[32:33], -v[30:31]
	v_mul_f64 v[26:27], v[26:27], v[34:35]
	v_add_f64 v[92:93], v[84:85], v[88:89]
	s_delay_alu instid0(VALU_DEP_2) | instskip(SKIP_1) | instid1(VALU_DEP_1)
	v_fma_f64 v[90:91], v[28:29], v[32:33], v[26:27]
	v_mul_u32_u24_e32 v26, 0xe38f, v10
	v_lshrrev_b32_e32 v26, 19, v26
	s_delay_alu instid0(VALU_DEP_1) | instskip(NEXT) | instid1(VALU_DEP_1)
	v_mul_lo_u16 v27, v26, 9
	v_sub_nc_u16 v27, v3, v27
	s_delay_alu instid0(VALU_DEP_1) | instskip(NEXT) | instid1(VALU_DEP_1)
	v_lshlrev_b16 v28, 5, v27
	v_and_b32_e32 v28, 0xffff, v28
	s_delay_alu instid0(VALU_DEP_1) | instskip(NEXT) | instid1(VALU_DEP_1)
	v_add_co_u32 v32, s15, s10, v28
	v_add_co_ci_u32_e64 v33, null, s11, 0, s15
	ds_load_b128 v[28:31], v136 offset:14112
	global_load_b128 v[44:47], v[32:33], off offset:96
	v_add_f64 v[94:95], v[86:87], v[90:91]
	s_waitcnt vmcnt(0) lgkmcnt(0)
	v_mul_f64 v[34:35], v[30:31], v[46:47]
	scratch_store_b128 off, v[44:47], off offset:1040 ; 16-byte Folded Spill
	v_fma_f64 v[96:97], v[28:29], v[44:45], -v[34:35]
	v_mul_f64 v[28:29], v[28:29], v[46:47]
	s_delay_alu instid0(VALU_DEP_1) | instskip(SKIP_4) | instid1(VALU_DEP_1)
	v_fma_f64 v[98:99], v[30:31], v[44:45], v[28:29]
	global_load_b128 v[44:47], v[32:33], off offset:112
	ds_load_b128 v[28:31], v136 offset:23184
	s_waitcnt vmcnt(0) lgkmcnt(0)
	v_mul_f64 v[32:33], v[30:31], v[46:47]
	v_fma_f64 v[100:101], v[28:29], v[44:45], -v[32:33]
	v_mul_f64 v[28:29], v[28:29], v[46:47]
	s_delay_alu instid0(VALU_DEP_2) | instskip(NEXT) | instid1(VALU_DEP_2)
	v_add_f64 v[104:105], v[96:97], v[100:101]
	v_fma_f64 v[102:103], v[30:31], v[44:45], v[28:29]
	v_mul_u32_u24_e32 v28, 0xe38f, v9
	s_delay_alu instid0(VALU_DEP_1) | instskip(NEXT) | instid1(VALU_DEP_1)
	v_lshrrev_b32_e32 v28, 19, v28
	v_mul_lo_u16 v29, v28, 9
	s_delay_alu instid0(VALU_DEP_1) | instskip(NEXT) | instid1(VALU_DEP_1)
	v_sub_nc_u16 v29, v2, v29
	v_lshlrev_b16 v30, 5, v29
	s_delay_alu instid0(VALU_DEP_1) | instskip(NEXT) | instid1(VALU_DEP_1)
	v_and_b32_e32 v30, 0xffff, v30
	v_add_co_u32 v34, s15, s10, v30
	s_delay_alu instid0(VALU_DEP_1)
	v_add_co_ci_u32_e64 v35, null, s11, 0, s15
	ds_load_b128 v[30:33], v136 offset:15120
	global_load_b128 v[56:59], v[34:35], off offset:96
	scratch_store_b128 off, v[44:47], off offset:1156 ; 16-byte Folded Spill
	v_add_f64 v[106:107], v[98:99], v[102:103]
	s_waitcnt vmcnt(0)
	scratch_store_b128 off, v[56:59], off offset:1244 ; 16-byte Folded Spill
	s_waitcnt lgkmcnt(0)
	v_mul_f64 v[44:45], v[32:33], v[58:59]
	s_delay_alu instid0(VALU_DEP_1) | instskip(SKIP_2) | instid1(VALU_DEP_1)
	v_fma_f64 v[112:113], v[30:31], v[56:57], -v[44:45]
	global_load_b128 v[44:47], v[34:35], off offset:112
	v_mul_f64 v[30:31], v[30:31], v[58:59]
	v_fma_f64 v[114:115], v[32:33], v[56:57], v[30:31]
	ds_load_b128 v[30:33], v136 offset:24192
	s_waitcnt vmcnt(0) lgkmcnt(0)
	v_mul_f64 v[34:35], v[32:33], v[46:47]
	scratch_store_b128 off, v[44:47], off offset:1312 ; 16-byte Folded Spill
	v_fma_f64 v[116:117], v[30:31], v[44:45], -v[34:35]
	v_mul_f64 v[30:31], v[30:31], v[46:47]
	s_delay_alu instid0(VALU_DEP_1) | instskip(SKIP_1) | instid1(VALU_DEP_1)
	v_fma_f64 v[118:119], v[32:33], v[44:45], v[30:31]
	v_mul_u32_u24_e32 v30, 0xe38f, v8
	v_lshrrev_b32_e32 v30, 19, v30
	s_delay_alu instid0(VALU_DEP_1) | instskip(NEXT) | instid1(VALU_DEP_1)
	v_mul_lo_u16 v31, v30, 9
	v_sub_nc_u16 v31, v1, v31
	s_delay_alu instid0(VALU_DEP_1) | instskip(NEXT) | instid1(VALU_DEP_1)
	v_lshlrev_b16 v32, 5, v31
	v_and_b32_e32 v32, 0xffff, v32
	s_delay_alu instid0(VALU_DEP_1) | instskip(NEXT) | instid1(VALU_DEP_1)
	v_add_co_u32 v44, s15, s10, v32
	v_add_co_ci_u32_e64 v45, null, s11, 0, s15
	ds_load_b128 v[32:35], v136 offset:16128
	global_load_b128 v[56:59], v[44:45], off offset:96
	s_waitcnt vmcnt(0) lgkmcnt(0)
	v_mul_f64 v[46:47], v[34:35], v[58:59]
	scratch_store_b128 off, v[56:59], off offset:1368 ; 16-byte Folded Spill
	v_fma_f64 v[128:129], v[32:33], v[56:57], -v[46:47]
	v_mul_f64 v[32:33], v[32:33], v[58:59]
	s_delay_alu instid0(VALU_DEP_1)
	v_fma_f64 v[130:131], v[34:35], v[56:57], v[32:33]
	global_load_b128 v[56:59], v[44:45], off offset:112
	ds_load_b128 v[32:35], v136 offset:25200
	s_waitcnt vmcnt(0) lgkmcnt(0)
	v_mul_f64 v[44:45], v[34:35], v[58:59]
	scratch_store_b128 off, v[56:59], off offset:1436 ; 16-byte Folded Spill
	v_fma_f64 v[132:133], v[32:33], v[56:57], -v[44:45]
	v_mul_f64 v[32:33], v[32:33], v[58:59]
	s_delay_alu instid0(VALU_DEP_1) | instskip(SKIP_1) | instid1(VALU_DEP_1)
	v_fma_f64 v[134:135], v[34:35], v[56:57], v[32:33]
	v_mul_u32_u24_e32 v32, 0xe38f, v7
	v_lshrrev_b32_e32 v152, 19, v32
	s_delay_alu instid0(VALU_DEP_1) | instskip(NEXT) | instid1(VALU_DEP_1)
	v_mul_lo_u16 v32, v152, 9
	v_sub_nc_u16 v153, v0, v32
	s_delay_alu instid0(VALU_DEP_1) | instskip(NEXT) | instid1(VALU_DEP_1)
	v_lshlrev_b16 v32, 5, v153
	v_and_b32_e32 v32, 0xffff, v32
	s_delay_alu instid0(VALU_DEP_1) | instskip(NEXT) | instid1(VALU_DEP_1)
	v_add_co_u32 v44, s15, s10, v32
	v_add_co_ci_u32_e64 v45, null, s11, 0, s15
	ds_load_b128 v[32:35], v136 offset:17136
	global_load_b128 v[56:59], v[44:45], off offset:96
	s_waitcnt vmcnt(0) lgkmcnt(0)
	v_mul_f64 v[46:47], v[34:35], v[58:59]
	scratch_store_b128 off, v[56:59], off offset:1528 ; 16-byte Folded Spill
	v_fma_f64 v[144:145], v[32:33], v[56:57], -v[46:47]
	v_mul_f64 v[32:33], v[32:33], v[58:59]
	v_add_f64 v[46:47], v[38:39], v[42:43]
	s_delay_alu instid0(VALU_DEP_2)
	v_fma_f64 v[146:147], v[34:35], v[56:57], v[32:33]
	global_load_b128 v[56:59], v[44:45], off offset:112
	ds_load_b128 v[32:35], v136 offset:26208
	s_waitcnt vmcnt(0) lgkmcnt(0)
	v_mul_f64 v[44:45], v[34:35], v[58:59]
	scratch_store_b128 off, v[56:59], off offset:1588 ; 16-byte Folded Spill
	v_fma_f64 v[148:149], v[32:33], v[56:57], -v[44:45]
	v_mul_f64 v[32:33], v[32:33], v[58:59]
	v_add_f64 v[44:45], v[36:37], v[40:41]
	v_add_f64 v[58:59], v[50:51], v[54:55]
	s_delay_alu instid0(VALU_DEP_3)
	v_fma_f64 v[150:151], v[34:35], v[56:57], v[32:33]
	ds_load_b128 v[32:35], v136
	v_add_f64 v[56:57], v[48:49], v[52:53]
	s_waitcnt lgkmcnt(0)
	v_fma_f64 v[46:47], v[46:47], -0.5, v[34:35]
	v_add_f64 v[34:35], v[34:35], v[38:39]
	v_fma_f64 v[44:45], v[44:45], -0.5, v[32:33]
	v_add_f64 v[32:33], v[32:33], v[36:37]
	v_add_f64 v[38:39], v[38:39], -v[42:43]
	s_delay_alu instid0(VALU_DEP_4) | instskip(SKIP_1) | instid1(VALU_DEP_4)
	v_add_f64 v[34:35], v[34:35], v[42:43]
	v_add_f64 v[42:43], v[36:37], -v[40:41]
	v_add_f64 v[32:33], v[32:33], v[40:41]
	s_delay_alu instid0(VALU_DEP_4) | instskip(SKIP_1) | instid1(VALU_DEP_4)
	v_fma_f64 v[36:37], v[38:39], s[2:3], v[44:45]
	v_fma_f64 v[40:41], v[38:39], s[12:13], v[44:45]
	v_fma_f64 v[38:39], v[42:43], s[12:13], v[46:47]
	v_fma_f64 v[42:43], v[42:43], s[2:3], v[46:47]
	ds_load_b128 v[44:47], v136 offset:1008
	s_waitcnt lgkmcnt(0)
	v_fma_f64 v[58:59], v[58:59], -0.5, v[46:47]
	v_add_f64 v[46:47], v[46:47], v[50:51]
	v_fma_f64 v[56:57], v[56:57], -0.5, v[44:45]
	v_add_f64 v[44:45], v[44:45], v[48:49]
	v_add_f64 v[50:51], v[50:51], -v[54:55]
	s_delay_alu instid0(VALU_DEP_4) | instskip(SKIP_1) | instid1(VALU_DEP_4)
	v_add_f64 v[46:47], v[46:47], v[54:55]
	v_add_f64 v[54:55], v[48:49], -v[52:53]
	v_add_f64 v[44:45], v[44:45], v[52:53]
	s_delay_alu instid0(VALU_DEP_4) | instskip(SKIP_1) | instid1(VALU_DEP_4)
	v_fma_f64 v[48:49], v[50:51], s[2:3], v[56:57]
	v_fma_f64 v[52:53], v[50:51], s[12:13], v[56:57]
	v_fma_f64 v[50:51], v[54:55], s[12:13], v[58:59]
	v_fma_f64 v[54:55], v[54:55], s[2:3], v[58:59]
	ds_load_b128 v[56:59], v136 offset:2016
	;; [unrolled: 16-line block ×5, first 2 shown]
	s_waitcnt lgkmcnt(0)
	s_waitcnt_vscnt null, 0x0
	s_barrier
	buffer_gl0_inv
	ds_store_b128 v16, v[32:35]
	ds_store_b128 v16, v[36:39] offset:144
	scratch_store_b32 off, v16, off offset:1740 ; 4-byte Folded Spill
	ds_store_b128 v16, v[40:43] offset:288
	v_and_b32_e32 v16, 0xffff, v18
	s_delay_alu instid0(VALU_DEP_1) | instskip(NEXT) | instid1(VALU_DEP_1)
	v_mul_u32_u24_e32 v16, 27, v16
	v_add_lshl_u32 v16, v16, v19, 4
	ds_store_b128 v16, v[44:47]
	ds_store_b128 v16, v[48:51] offset:144
	v_fma_f64 v[104:105], v[104:105], -0.5, v[92:93]
	v_add_f64 v[92:93], v[92:93], v[96:97]
	v_fma_f64 v[106:107], v[106:107], -0.5, v[94:95]
	v_add_f64 v[94:95], v[94:95], v[98:99]
	v_add_f64 v[98:99], v[98:99], -v[102:103]
	scratch_store_b32 off, v16, off offset:1720 ; 4-byte Folded Spill
	ds_store_b128 v16, v[52:55] offset:288
	v_and_b32_e32 v16, 0xffff, v20
	s_delay_alu instid0(VALU_DEP_1) | instskip(NEXT) | instid1(VALU_DEP_1)
	v_mul_u32_u24_e32 v16, 27, v16
	v_add_lshl_u32 v16, v16, v21, 4
	ds_store_b128 v16, v[56:59]
	ds_store_b128 v16, v[60:63] offset:144
	scratch_store_b32 off, v16, off offset:1332 ; 4-byte Folded Spill
	ds_store_b128 v16, v[64:67] offset:288
	v_and_b32_e32 v16, 0xffff, v22
	s_delay_alu instid0(VALU_DEP_1) | instskip(NEXT) | instid1(VALU_DEP_1)
	v_mul_u32_u24_e32 v16, 27, v16
	v_add_lshl_u32 v16, v16, v23, 4
	ds_store_b128 v16, v[68:71]
	ds_store_b128 v16, v[72:75] offset:144
	v_add_f64 v[92:93], v[92:93], v[100:101]
	v_add_f64 v[100:101], v[96:97], -v[100:101]
	v_fma_f64 v[96:97], v[98:99], s[2:3], v[104:105]
	v_fma_f64 v[104:105], v[98:99], s[12:13], v[104:105]
	v_add_f64 v[94:95], v[94:95], v[102:103]
	v_add_f64 v[102:103], v[114:115], v[118:119]
	scratch_store_b32 off, v16, off offset:1276 ; 4-byte Folded Spill
	ds_store_b128 v16, v[76:79] offset:288
	v_mad_u16 v16, v24, 27, v25
	s_delay_alu instid0(VALU_DEP_1) | instskip(NEXT) | instid1(VALU_DEP_1)
	v_and_b32_e32 v16, 0xffff, v16
	v_lshlrev_b32_e32 v16, 4, v16
	ds_store_b128 v16, v[80:83]
	ds_store_b128 v16, v[84:87] offset:144
	scratch_store_b32 off, v16, off offset:1224 ; 4-byte Folded Spill
	ds_store_b128 v16, v[88:91] offset:288
	v_mad_u16 v16, v26, 27, v27
	s_delay_alu instid0(VALU_DEP_1) | instskip(NEXT) | instid1(VALU_DEP_1)
	v_and_b32_e32 v16, 0xffff, v16
	v_lshlrev_b32_e32 v16, 4, v16
	v_fma_f64 v[98:99], v[100:101], s[12:13], v[106:107]
	v_fma_f64 v[106:107], v[100:101], s[2:3], v[106:107]
	v_add_f64 v[100:101], v[112:113], v[116:117]
	ds_store_b128 v16, v[92:95]
	ds_store_b128 v16, v[96:99] offset:144
	v_fma_f64 v[102:103], v[102:103], -0.5, v[110:111]
	v_add_f64 v[110:111], v[110:111], v[114:115]
	v_fma_f64 v[100:101], v[100:101], -0.5, v[108:109]
	v_add_f64 v[108:109], v[108:109], v[112:113]
	v_add_f64 v[114:115], v[114:115], -v[118:119]
	scratch_store_b32 off, v16, off offset:1172 ; 4-byte Folded Spill
	ds_store_b128 v16, v[104:107] offset:288
	v_mad_u16 v16, v28, 27, v29
	s_delay_alu instid0(VALU_DEP_1) | instskip(NEXT) | instid1(VALU_DEP_1)
	v_and_b32_e32 v16, 0xffff, v16
	v_lshlrev_b32_e32 v16, 4, v16
	v_add_f64 v[110:111], v[110:111], v[118:119]
	v_add_f64 v[118:119], v[124:125], v[128:129]
	;; [unrolled: 1-line block ×3, first 2 shown]
	v_add_f64 v[116:117], v[112:113], -v[116:117]
	v_fma_f64 v[112:113], v[114:115], s[2:3], v[100:101]
	v_fma_f64 v[120:121], v[114:115], s[12:13], v[100:101]
	v_add_f64 v[100:101], v[128:129], v[132:133]
	s_delay_alu instid0(VALU_DEP_4)
	v_fma_f64 v[114:115], v[116:117], s[12:13], v[102:103]
	v_fma_f64 v[122:123], v[116:117], s[2:3], v[102:103]
	v_add_f64 v[102:103], v[130:131], v[134:135]
	v_add_f64 v[116:117], v[126:127], v[130:131]
	v_fma_f64 v[100:101], v[100:101], -0.5, v[124:125]
	v_add_f64 v[130:131], v[130:131], -v[134:135]
	v_add_f64 v[124:125], v[118:119], v[132:133]
	v_add_f64 v[118:119], v[139:140], v[144:145]
	ds_store_b128 v16, v[108:111]
	ds_store_b128 v16, v[112:115] offset:144
	scratch_store_b32 off, v16, off offset:1072 ; 4-byte Folded Spill
	ds_store_b128 v16, v[120:123] offset:288
	v_fma_f64 v[102:103], v[102:103], -0.5, v[126:127]
	v_add_f64 v[126:127], v[116:117], v[134:135]
	v_add_f64 v[116:117], v[128:129], -v[132:133]
	v_fma_f64 v[128:129], v[130:131], s[2:3], v[100:101]
	v_fma_f64 v[132:133], v[130:131], s[12:13], v[100:101]
	v_add_f64 v[100:101], v[144:145], v[148:149]
	v_mad_u16 v16, v30, 27, v31
	s_delay_alu instid0(VALU_DEP_1) | instskip(NEXT) | instid1(VALU_DEP_1)
	v_and_b32_e32 v16, 0xffff, v16
	v_lshlrev_b32_e32 v16, 4, v16
	v_fma_f64 v[130:131], v[116:117], s[12:13], v[102:103]
	v_fma_f64 v[134:135], v[116:117], s[2:3], v[102:103]
	v_add_f64 v[102:103], v[146:147], v[150:151]
	v_add_f64 v[116:117], v[141:142], v[146:147]
	v_fma_f64 v[100:101], v[100:101], -0.5, v[139:140]
	v_add_f64 v[146:147], v[146:147], -v[150:151]
	ds_store_b128 v16, v[124:127]
	ds_store_b128 v16, v[128:131] offset:144
	scratch_store_b32 off, v16, off offset:1004 ; 4-byte Folded Spill
	ds_store_b128 v16, v[132:135] offset:288
	v_fma_f64 v[102:103], v[102:103], -0.5, v[141:142]
	v_add_f64 v[142:143], v[116:117], v[150:151]
	v_add_f64 v[116:117], v[144:145], -v[148:149]
	v_add_f64 v[140:141], v[118:119], v[148:149]
	v_fma_f64 v[148:149], v[146:147], s[12:13], v[100:101]
	v_fma_f64 v[144:145], v[146:147], s[2:3], v[100:101]
	v_mad_u16 v16, v152, 27, v153
	s_delay_alu instid0(VALU_DEP_1) | instskip(NEXT) | instid1(VALU_DEP_1)
	v_and_b32_e32 v16, 0xffff, v16
	v_lshlrev_b32_e32 v16, 4, v16
	v_fma_f64 v[150:151], v[116:117], s[2:3], v[102:103]
	v_fma_f64 v[146:147], v[116:117], s[12:13], v[102:103]
	ds_store_b128 v16, v[140:143]
	ds_store_b128 v16, v[144:147] offset:144
	scratch_store_b32 off, v16, off offset:968 ; 4-byte Folded Spill
	ds_store_b128 v16, v[148:151] offset:288
	v_mul_lo_u16 v16, v14, 27
	s_waitcnt lgkmcnt(0)
	s_waitcnt_vscnt null, 0x0
	s_barrier
	buffer_gl0_inv
	ds_load_b128 v[17:20], v136 offset:9072
	v_sub_nc_u16 v16, v138, v16
	v_mul_lo_u16 v14, 0x51, v14
	ds_load_b128 v[120:123], v136 offset:6048
	ds_load_b128 v[140:143], v136 offset:7056
	;; [unrolled: 1-line block ×3, first 2 shown]
	v_and_b32_e32 v16, 0xff, v16
	v_and_b32_e32 v14, 0xff, v14
	s_delay_alu instid0(VALU_DEP_2) | instskip(NEXT) | instid1(VALU_DEP_2)
	v_lshlrev_b32_e32 v23, 5, v16
	v_add_lshl_u32 v14, v14, v16, 4
	global_load_b128 v[24:27], v23, s[10:11] offset:384
	s_waitcnt vmcnt(0) lgkmcnt(3)
	v_mul_f64 v[21:22], v[19:20], v[26:27]
	scratch_store_b128 off, v[24:27], off offset:952 ; 16-byte Folded Spill
	v_fma_f64 v[34:35], v[17:18], v[24:25], -v[21:22]
	v_mul_f64 v[17:18], v[17:18], v[26:27]
	s_delay_alu instid0(VALU_DEP_1)
	v_fma_f64 v[36:37], v[19:20], v[24:25], v[17:18]
	global_load_b128 v[23:26], v23, s[10:11] offset:400
	ds_load_b128 v[17:20], v136 offset:18144
	s_waitcnt vmcnt(0) lgkmcnt(0)
	v_mul_f64 v[21:22], v[19:20], v[25:26]
	scratch_store_b128 off, v[23:26], off offset:988 ; 16-byte Folded Spill
	v_fma_f64 v[38:39], v[17:18], v[23:24], -v[21:22]
	v_mul_f64 v[17:18], v[17:18], v[25:26]
	s_delay_alu instid0(VALU_DEP_1) | instskip(SKIP_3) | instid1(VALU_DEP_1)
	v_fma_f64 v[40:41], v[19:20], v[23:24], v[17:18]
	v_mul_lo_u16 v17, v15, 27
	ds_load_b128 v[18:21], v136 offset:10080
	v_sub_nc_u16 v17, v6, v17
	v_and_b32_e32 v17, 0xff, v17
	s_delay_alu instid0(VALU_DEP_1)
	v_lshlrev_b32_e32 v24, 5, v17
	global_load_b128 v[25:28], v24, s[10:11] offset:384
	s_waitcnt vmcnt(0) lgkmcnt(0)
	v_mul_f64 v[22:23], v[20:21], v[27:28]
	scratch_store_b128 off, v[25:28], off offset:1008 ; 16-byte Folded Spill
	v_fma_f64 v[46:47], v[18:19], v[25:26], -v[22:23]
	v_mul_f64 v[18:19], v[18:19], v[27:28]
	s_delay_alu instid0(VALU_DEP_1)
	v_fma_f64 v[48:49], v[20:21], v[25:26], v[18:19]
	global_load_b128 v[24:27], v24, s[10:11] offset:400
	ds_load_b128 v[18:21], v136 offset:19152
	s_waitcnt vmcnt(0) lgkmcnt(0)
	v_mul_f64 v[22:23], v[20:21], v[26:27]
	scratch_store_b128 off, v[24:27], off offset:1056 ; 16-byte Folded Spill
	v_fma_f64 v[50:51], v[18:19], v[24:25], -v[22:23]
	v_mul_f64 v[18:19], v[18:19], v[26:27]
	s_delay_alu instid0(VALU_DEP_1) | instskip(SKIP_3) | instid1(VALU_DEP_1)
	v_fma_f64 v[52:53], v[20:21], v[24:25], v[18:19]
	v_mul_lo_u16 v18, v13, 19
	ds_load_b128 v[20:23], v136 offset:11088
	v_lshrrev_b16 v18, 9, v18
	v_mul_lo_u16 v19, v18, 27
	s_delay_alu instid0(VALU_DEP_1) | instskip(NEXT) | instid1(VALU_DEP_1)
	v_sub_nc_u16 v19, v5, v19
	v_and_b32_e32 v19, 0xff, v19
	s_delay_alu instid0(VALU_DEP_1)
	v_lshlrev_b32_e32 v26, 5, v19
	global_load_b128 v[27:30], v26, s[10:11] offset:384
	s_waitcnt vmcnt(0) lgkmcnt(0)
	v_mul_f64 v[24:25], v[22:23], v[29:30]
	scratch_store_b128 off, v[27:30], off offset:1076 ; 16-byte Folded Spill
	v_fma_f64 v[58:59], v[20:21], v[27:28], -v[24:25]
	v_mul_f64 v[20:21], v[20:21], v[29:30]
	s_delay_alu instid0(VALU_DEP_1)
	v_fma_f64 v[60:61], v[22:23], v[27:28], v[20:21]
	global_load_b128 v[26:29], v26, s[10:11] offset:400
	ds_load_b128 v[20:23], v136 offset:20160
	s_waitcnt vmcnt(0) lgkmcnt(0)
	v_mul_f64 v[24:25], v[22:23], v[28:29]
	scratch_store_b128 off, v[26:29], off offset:1140 ; 16-byte Folded Spill
	v_fma_f64 v[62:63], v[20:21], v[26:27], -v[24:25]
	v_mul_f64 v[20:21], v[20:21], v[28:29]
	s_delay_alu instid0(VALU_DEP_2) | instskip(NEXT) | instid1(VALU_DEP_2)
	v_add_f64 v[66:67], v[58:59], v[62:63]
	v_fma_f64 v[64:65], v[22:23], v[26:27], v[20:21]
	v_mul_lo_u16 v20, v12, 19
	ds_load_b128 v[22:25], v136 offset:12096
	v_lshrrev_b16 v20, 9, v20
	s_delay_alu instid0(VALU_DEP_1) | instskip(NEXT) | instid1(VALU_DEP_1)
	v_mul_lo_u16 v21, v20, 27
	v_sub_nc_u16 v21, v137, v21
	s_delay_alu instid0(VALU_DEP_1) | instskip(NEXT) | instid1(VALU_DEP_1)
	v_and_b32_e32 v21, 0xff, v21
	v_lshlrev_b32_e32 v28, 5, v21
	global_load_b128 v[29:32], v28, s[10:11] offset:384
	v_add_f64 v[68:69], v[60:61], v[64:65]
	s_waitcnt vmcnt(0) lgkmcnt(0)
	v_mul_f64 v[26:27], v[24:25], v[31:32]
	scratch_store_b128 off, v[29:32], off offset:1176 ; 16-byte Folded Spill
	v_fma_f64 v[70:71], v[22:23], v[29:30], -v[26:27]
	v_mul_f64 v[22:23], v[22:23], v[31:32]
	s_delay_alu instid0(VALU_DEP_1)
	v_fma_f64 v[72:73], v[24:25], v[29:30], v[22:23]
	global_load_b128 v[28:31], v28, s[10:11] offset:400
	ds_load_b128 v[22:25], v136 offset:21168
	s_waitcnt vmcnt(0) lgkmcnt(0)
	v_mul_f64 v[26:27], v[24:25], v[30:31]
	scratch_store_b128 off, v[28:31], off offset:1208 ; 16-byte Folded Spill
	v_fma_f64 v[74:75], v[22:23], v[28:29], -v[26:27]
	v_mul_f64 v[22:23], v[22:23], v[30:31]
	s_delay_alu instid0(VALU_DEP_2) | instskip(NEXT) | instid1(VALU_DEP_2)
	v_add_f64 v[78:79], v[70:71], v[74:75]
	v_fma_f64 v[76:77], v[24:25], v[28:29], v[22:23]
	v_mul_u32_u24_e32 v22, 0x2f69, v11
	s_delay_alu instid0(VALU_DEP_1) | instskip(NEXT) | instid1(VALU_DEP_1)
	v_lshrrev_b32_e32 v22, 16, v22
	v_sub_nc_u16 v23, v4, v22
	s_delay_alu instid0(VALU_DEP_1) | instskip(NEXT) | instid1(VALU_DEP_1)
	v_lshrrev_b16 v23, 1, v23
	v_add_nc_u16 v22, v23, v22
	s_delay_alu instid0(VALU_DEP_1) | instskip(NEXT) | instid1(VALU_DEP_1)
	v_lshrrev_b16 v22, 4, v22
	v_mul_lo_u16 v23, v22, 27
	s_delay_alu instid0(VALU_DEP_1) | instskip(SKIP_1) | instid1(VALU_DEP_2)
	v_sub_nc_u16 v23, v4, v23
	v_add_f64 v[80:81], v[72:73], v[76:77]
	v_lshlrev_b16 v24, 5, v23
	s_delay_alu instid0(VALU_DEP_1) | instskip(NEXT) | instid1(VALU_DEP_1)
	v_and_b32_e32 v24, 0xffff, v24
	v_add_co_u32 v28, s15, s10, v24
	s_delay_alu instid0(VALU_DEP_1) | instskip(SKIP_4) | instid1(VALU_DEP_1)
	v_add_co_ci_u32_e64 v29, null, s11, 0, s15
	ds_load_b128 v[24:27], v136 offset:13104
	global_load_b128 v[42:45], v[28:29], off offset:384
	s_waitcnt vmcnt(0) lgkmcnt(0)
	v_mul_f64 v[30:31], v[26:27], v[44:45]
	v_fma_f64 v[82:83], v[24:25], v[42:43], -v[30:31]
	global_load_b128 v[30:33], v[28:29], off offset:400
	v_mul_f64 v[24:25], v[24:25], v[44:45]
	scratch_store_b128 off, v[42:45], off offset:1280 ; 16-byte Folded Spill
	v_fma_f64 v[84:85], v[26:27], v[42:43], v[24:25]
	ds_load_b128 v[24:27], v136 offset:22176
	s_waitcnt vmcnt(0)
	scratch_store_b128 off, v[30:33], off offset:1336 ; 16-byte Folded Spill
	s_waitcnt lgkmcnt(0)
	v_mul_f64 v[28:29], v[26:27], v[32:33]
	s_delay_alu instid0(VALU_DEP_1) | instskip(SKIP_1) | instid1(VALU_DEP_2)
	v_fma_f64 v[86:87], v[24:25], v[30:31], -v[28:29]
	v_mul_f64 v[24:25], v[24:25], v[32:33]
	v_add_f64 v[90:91], v[82:83], v[86:87]
	s_delay_alu instid0(VALU_DEP_2) | instskip(SKIP_1) | instid1(VALU_DEP_1)
	v_fma_f64 v[88:89], v[26:27], v[30:31], v[24:25]
	v_mul_u32_u24_e32 v24, 0x2f69, v10
	v_lshrrev_b32_e32 v24, 16, v24
	s_delay_alu instid0(VALU_DEP_1) | instskip(NEXT) | instid1(VALU_DEP_1)
	v_sub_nc_u16 v25, v3, v24
	v_lshrrev_b16 v25, 1, v25
	s_delay_alu instid0(VALU_DEP_1) | instskip(NEXT) | instid1(VALU_DEP_1)
	v_add_nc_u16 v24, v25, v24
	v_lshrrev_b16 v24, 4, v24
	s_delay_alu instid0(VALU_DEP_1) | instskip(NEXT) | instid1(VALU_DEP_1)
	v_mul_lo_u16 v25, v24, 27
	v_sub_nc_u16 v25, v3, v25
	v_add_f64 v[92:93], v[84:85], v[88:89]
	s_delay_alu instid0(VALU_DEP_2) | instskip(NEXT) | instid1(VALU_DEP_1)
	v_lshlrev_b16 v26, 5, v25
	v_and_b32_e32 v26, 0xffff, v26
	s_delay_alu instid0(VALU_DEP_1) | instskip(NEXT) | instid1(VALU_DEP_1)
	v_add_co_u32 v30, s15, s10, v26
	v_add_co_ci_u32_e64 v31, null, s11, 0, s15
	ds_load_b128 v[26:29], v136 offset:14112
	global_load_b128 v[42:45], v[30:31], off offset:384
	s_waitcnt vmcnt(0) lgkmcnt(0)
	v_mul_f64 v[32:33], v[28:29], v[44:45]
	scratch_store_b128 off, v[42:45], off offset:1420 ; 16-byte Folded Spill
	v_fma_f64 v[94:95], v[26:27], v[42:43], -v[32:33]
	v_mul_f64 v[26:27], v[26:27], v[44:45]
	s_delay_alu instid0(VALU_DEP_1) | instskip(SKIP_4) | instid1(VALU_DEP_1)
	v_fma_f64 v[96:97], v[28:29], v[42:43], v[26:27]
	global_load_b128 v[42:45], v[30:31], off offset:400
	ds_load_b128 v[26:29], v136 offset:23184
	s_waitcnt vmcnt(0) lgkmcnt(0)
	v_mul_f64 v[30:31], v[28:29], v[44:45]
	v_fma_f64 v[98:99], v[26:27], v[42:43], -v[30:31]
	v_mul_f64 v[26:27], v[26:27], v[44:45]
	s_delay_alu instid0(VALU_DEP_2) | instskip(NEXT) | instid1(VALU_DEP_2)
	v_add_f64 v[104:105], v[94:95], v[98:99]
	v_fma_f64 v[100:101], v[28:29], v[42:43], v[26:27]
	v_mul_u32_u24_e32 v26, 0x2f69, v9
	s_delay_alu instid0(VALU_DEP_1) | instskip(NEXT) | instid1(VALU_DEP_1)
	v_lshrrev_b32_e32 v26, 16, v26
	v_sub_nc_u16 v27, v2, v26
	s_delay_alu instid0(VALU_DEP_1) | instskip(NEXT) | instid1(VALU_DEP_1)
	v_lshrrev_b16 v27, 1, v27
	v_add_nc_u16 v26, v27, v26
	s_delay_alu instid0(VALU_DEP_1) | instskip(NEXT) | instid1(VALU_DEP_1)
	v_lshrrev_b16 v26, 4, v26
	v_mul_lo_u16 v27, v26, 27
	s_delay_alu instid0(VALU_DEP_1) | instskip(SKIP_1) | instid1(VALU_DEP_2)
	v_sub_nc_u16 v27, v2, v27
	v_add_f64 v[106:107], v[96:97], v[100:101]
	v_lshlrev_b16 v28, 5, v27
	s_delay_alu instid0(VALU_DEP_1) | instskip(NEXT) | instid1(VALU_DEP_1)
	v_and_b32_e32 v28, 0xffff, v28
	v_add_co_u32 v32, s15, s10, v28
	s_delay_alu instid0(VALU_DEP_1)
	v_add_co_ci_u32_e64 v33, null, s11, 0, s15
	ds_load_b128 v[28:31], v136 offset:15120
	global_load_b128 v[54:57], v[32:33], off offset:384
	scratch_store_b128 off, v[42:45], off offset:1500 ; 16-byte Folded Spill
	s_waitcnt vmcnt(0)
	scratch_store_b128 off, v[54:57], off offset:1572 ; 16-byte Folded Spill
	s_waitcnt lgkmcnt(0)
	v_mul_f64 v[42:43], v[30:31], v[56:57]
	s_delay_alu instid0(VALU_DEP_1) | instskip(SKIP_2) | instid1(VALU_DEP_1)
	v_fma_f64 v[102:103], v[28:29], v[54:55], -v[42:43]
	global_load_b128 v[42:45], v[32:33], off offset:400
	v_mul_f64 v[28:29], v[28:29], v[56:57]
	v_fma_f64 v[112:113], v[30:31], v[54:55], v[28:29]
	ds_load_b128 v[28:31], v136 offset:24192
	s_waitcnt vmcnt(0) lgkmcnt(0)
	v_mul_f64 v[32:33], v[30:31], v[44:45]
	scratch_store_b128 off, v[42:45], off offset:1628 ; 16-byte Folded Spill
	v_fma_f64 v[114:115], v[28:29], v[42:43], -v[32:33]
	v_mul_f64 v[28:29], v[28:29], v[44:45]
	s_delay_alu instid0(VALU_DEP_1) | instskip(SKIP_1) | instid1(VALU_DEP_1)
	v_fma_f64 v[116:117], v[30:31], v[42:43], v[28:29]
	v_mul_u32_u24_e32 v28, 0x2f69, v8
	v_lshrrev_b32_e32 v28, 16, v28
	s_delay_alu instid0(VALU_DEP_1) | instskip(NEXT) | instid1(VALU_DEP_1)
	v_sub_nc_u16 v29, v1, v28
	v_lshrrev_b16 v29, 1, v29
	s_delay_alu instid0(VALU_DEP_1) | instskip(NEXT) | instid1(VALU_DEP_1)
	v_add_nc_u16 v28, v29, v28
	v_lshrrev_b16 v28, 4, v28
	s_delay_alu instid0(VALU_DEP_1) | instskip(NEXT) | instid1(VALU_DEP_1)
	v_mul_lo_u16 v29, v28, 27
	v_sub_nc_u16 v29, v1, v29
	s_delay_alu instid0(VALU_DEP_1) | instskip(NEXT) | instid1(VALU_DEP_1)
	v_lshlrev_b16 v30, 5, v29
	v_and_b32_e32 v30, 0xffff, v30
	s_delay_alu instid0(VALU_DEP_1) | instskip(NEXT) | instid1(VALU_DEP_1)
	v_add_co_u32 v42, s15, s10, v30
	v_add_co_ci_u32_e64 v43, null, s11, 0, s15
	ds_load_b128 v[30:33], v136 offset:16128
	s_clause 0x1
	global_load_b128 v[54:57], v[42:43], off offset:384
	global_load_b128 v[156:159], v[42:43], off offset:400
	s_waitcnt vmcnt(1) lgkmcnt(0)
	v_mul_f64 v[44:45], v[32:33], v[56:57]
	scratch_store_b128 off, v[54:57], off offset:1700 ; 16-byte Folded Spill
	v_fma_f64 v[118:119], v[30:31], v[54:55], -v[44:45]
	v_mul_f64 v[30:31], v[30:31], v[56:57]
	v_add_f64 v[56:57], v[48:49], v[52:53]
	s_delay_alu instid0(VALU_DEP_2) | instskip(SKIP_4) | instid1(VALU_DEP_1)
	v_fma_f64 v[128:129], v[32:33], v[54:55], v[30:31]
	ds_load_b128 v[30:33], v136 offset:25200
	v_add_f64 v[54:55], v[46:47], v[50:51]
	s_waitcnt vmcnt(0) lgkmcnt(0)
	v_mul_f64 v[42:43], v[32:33], v[158:159]
	v_fma_f64 v[130:131], v[30:31], v[156:157], -v[42:43]
	v_mul_f64 v[30:31], v[30:31], v[158:159]
	s_delay_alu instid0(VALU_DEP_1) | instskip(SKIP_1) | instid1(VALU_DEP_1)
	v_fma_f64 v[144:145], v[32:33], v[156:157], v[30:31]
	v_mul_u32_u24_e32 v30, 0x2f69, v7
	v_lshrrev_b32_e32 v30, 16, v30
	s_delay_alu instid0(VALU_DEP_1) | instskip(NEXT) | instid1(VALU_DEP_1)
	v_sub_nc_u16 v31, v0, v30
	v_lshrrev_b16 v31, 1, v31
	s_delay_alu instid0(VALU_DEP_1) | instskip(NEXT) | instid1(VALU_DEP_1)
	v_add_nc_u16 v30, v31, v30
	v_lshrrev_b16 v108, 4, v30
	s_delay_alu instid0(VALU_DEP_1) | instskip(NEXT) | instid1(VALU_DEP_1)
	v_mul_lo_u16 v30, v108, 27
	v_sub_nc_u16 v109, v0, v30
	s_delay_alu instid0(VALU_DEP_1) | instskip(NEXT) | instid1(VALU_DEP_1)
	v_lshlrev_b16 v30, 5, v109
	v_and_b32_e32 v30, 0xffff, v30
	s_delay_alu instid0(VALU_DEP_1) | instskip(NEXT) | instid1(VALU_DEP_1)
	v_add_co_u32 v42, s15, s10, v30
	v_add_co_ci_u32_e64 v43, null, s11, 0, s15
	ds_load_b128 v[30:33], v136 offset:17136
	s_clause 0x1
	global_load_b128 v[164:167], v[42:43], off offset:384
	global_load_b128 v[160:163], v[42:43], off offset:400
	s_waitcnt vmcnt(1) lgkmcnt(0)
	v_mul_f64 v[44:45], v[32:33], v[166:167]
	s_delay_alu instid0(VALU_DEP_1) | instskip(SKIP_2) | instid1(VALU_DEP_2)
	v_fma_f64 v[172:173], v[30:31], v[164:165], -v[44:45]
	v_mul_f64 v[30:31], v[30:31], v[166:167]
	v_add_f64 v[44:45], v[36:37], v[40:41]
	v_fma_f64 v[174:175], v[32:33], v[164:165], v[30:31]
	ds_load_b128 v[30:33], v136 offset:26208
	s_waitcnt vmcnt(0) lgkmcnt(0)
	v_mul_f64 v[42:43], v[32:33], v[162:163]
	s_delay_alu instid0(VALU_DEP_1) | instskip(SKIP_2) | instid1(VALU_DEP_2)
	v_fma_f64 v[176:177], v[30:31], v[160:161], -v[42:43]
	v_mul_f64 v[30:31], v[30:31], v[162:163]
	v_add_f64 v[42:43], v[34:35], v[38:39]
	v_fma_f64 v[178:179], v[32:33], v[160:161], v[30:31]
	ds_load_b128 v[30:33], v136
	s_waitcnt lgkmcnt(0)
	v_fma_f64 v[44:45], v[44:45], -0.5, v[32:33]
	v_add_f64 v[32:33], v[32:33], v[36:37]
	v_fma_f64 v[42:43], v[42:43], -0.5, v[30:31]
	v_add_f64 v[30:31], v[30:31], v[34:35]
	v_add_f64 v[36:37], v[36:37], -v[40:41]
	s_delay_alu instid0(VALU_DEP_4) | instskip(SKIP_1) | instid1(VALU_DEP_4)
	v_add_f64 v[32:33], v[32:33], v[40:41]
	v_add_f64 v[40:41], v[34:35], -v[38:39]
	v_add_f64 v[30:31], v[30:31], v[38:39]
	s_delay_alu instid0(VALU_DEP_4) | instskip(SKIP_1) | instid1(VALU_DEP_4)
	v_fma_f64 v[34:35], v[36:37], s[2:3], v[42:43]
	v_fma_f64 v[38:39], v[36:37], s[12:13], v[42:43]
	v_fma_f64 v[36:37], v[40:41], s[12:13], v[44:45]
	v_fma_f64 v[40:41], v[40:41], s[2:3], v[44:45]
	ds_load_b128 v[42:45], v136 offset:1008
	s_waitcnt lgkmcnt(0)
	v_fma_f64 v[56:57], v[56:57], -0.5, v[44:45]
	v_add_f64 v[44:45], v[44:45], v[48:49]
	v_fma_f64 v[54:55], v[54:55], -0.5, v[42:43]
	v_add_f64 v[42:43], v[42:43], v[46:47]
	v_add_f64 v[48:49], v[48:49], -v[52:53]
	s_delay_alu instid0(VALU_DEP_4) | instskip(SKIP_1) | instid1(VALU_DEP_4)
	v_add_f64 v[44:45], v[44:45], v[52:53]
	v_add_f64 v[52:53], v[46:47], -v[50:51]
	v_add_f64 v[42:43], v[42:43], v[50:51]
	s_delay_alu instid0(VALU_DEP_4) | instskip(SKIP_1) | instid1(VALU_DEP_4)
	v_fma_f64 v[46:47], v[48:49], s[2:3], v[54:55]
	v_fma_f64 v[50:51], v[48:49], s[12:13], v[54:55]
	v_fma_f64 v[48:49], v[52:53], s[12:13], v[56:57]
	v_fma_f64 v[52:53], v[52:53], s[2:3], v[56:57]
	ds_load_b128 v[54:57], v136 offset:2016
	;; [unrolled: 16-line block ×5, first 2 shown]
	s_waitcnt lgkmcnt(0)
	s_waitcnt_vscnt null, 0x0
	s_barrier
	buffer_gl0_inv
	ds_store_b128 v14, v[30:33]
	ds_store_b128 v14, v[34:37] offset:432
	scratch_store_b32 off, v14, off offset:1664 ; 4-byte Folded Spill
	ds_store_b128 v14, v[38:41] offset:864
	v_and_b32_e32 v14, 0xffff, v15
	s_delay_alu instid0(VALU_DEP_1) | instskip(NEXT) | instid1(VALU_DEP_1)
	v_mul_u32_u24_e32 v14, 0x51, v14
	v_add_lshl_u32 v14, v14, v17, 4
	ds_store_b128 v14, v[42:45]
	ds_store_b128 v14, v[46:49] offset:432
	v_fma_f64 v[104:105], v[104:105], -0.5, v[90:91]
	v_add_f64 v[90:91], v[90:91], v[94:95]
	v_fma_f64 v[106:107], v[106:107], -0.5, v[92:93]
	v_add_f64 v[92:93], v[92:93], v[96:97]
	v_add_f64 v[96:97], v[96:97], -v[100:101]
	scratch_store_b32 off, v14, off offset:1660 ; 4-byte Folded Spill
	ds_store_b128 v14, v[50:53] offset:864
	v_and_b32_e32 v14, 0xffff, v18
	s_delay_alu instid0(VALU_DEP_1) | instskip(NEXT) | instid1(VALU_DEP_1)
	v_mul_u32_u24_e32 v14, 0x51, v14
	v_add_lshl_u32 v14, v14, v19, 4
	ds_store_b128 v14, v[54:57]
	ds_store_b128 v14, v[58:61] offset:432
	scratch_store_b32 off, v14, off offset:1620 ; 4-byte Folded Spill
	ds_store_b128 v14, v[62:65] offset:864
	v_and_b32_e32 v14, 0xffff, v20
	s_delay_alu instid0(VALU_DEP_1) | instskip(NEXT) | instid1(VALU_DEP_1)
	v_mul_u32_u24_e32 v14, 0x51, v14
	v_add_lshl_u32 v14, v14, v21, 4
	ds_store_b128 v14, v[66:69]
	ds_store_b128 v14, v[70:73] offset:432
	v_add_f64 v[90:91], v[90:91], v[98:99]
	v_add_f64 v[98:99], v[94:95], -v[98:99]
	v_add_f64 v[92:93], v[92:93], v[100:101]
	v_fma_f64 v[94:95], v[96:97], s[2:3], v[104:105]
	v_fma_f64 v[104:105], v[96:97], s[12:13], v[104:105]
	v_add_f64 v[100:101], v[112:113], v[116:117]
	scratch_store_b32 off, v14, off offset:1568 ; 4-byte Folded Spill
	ds_store_b128 v14, v[74:77] offset:864
	v_mad_u16 v14, 0x51, v22, v23
	s_delay_alu instid0(VALU_DEP_1) | instskip(NEXT) | instid1(VALU_DEP_1)
	v_and_b32_e32 v14, 0xffff, v14
	v_lshlrev_b32_e32 v14, 4, v14
	ds_store_b128 v14, v[78:81]
	ds_store_b128 v14, v[82:85] offset:432
	scratch_store_b32 off, v14, off offset:1524 ; 4-byte Folded Spill
	ds_store_b128 v14, v[86:89] offset:864
	v_mad_u16 v14, 0x51, v24, v25
	s_delay_alu instid0(VALU_DEP_1) | instskip(NEXT) | instid1(VALU_DEP_1)
	v_and_b32_e32 v14, 0xffff, v14
	v_lshlrev_b32_e32 v14, 4, v14
	v_fma_f64 v[96:97], v[98:99], s[12:13], v[106:107]
	v_fma_f64 v[106:107], v[98:99], s[2:3], v[106:107]
	v_add_f64 v[98:99], v[102:103], v[114:115]
	ds_store_b128 v14, v[90:93]
	ds_store_b128 v14, v[94:97] offset:432
	v_fma_f64 v[100:101], v[100:101], -0.5, v[122:123]
	v_add_f64 v[122:123], v[122:123], v[112:113]
	v_fma_f64 v[98:99], v[98:99], -0.5, v[120:121]
	v_add_f64 v[120:121], v[120:121], v[102:103]
	v_add_f64 v[112:113], v[112:113], -v[116:117]
	v_add_f64 v[102:103], v[102:103], -v[114:115]
	scratch_store_b32 off, v14, off offset:1488 ; 4-byte Folded Spill
	ds_store_b128 v14, v[104:107] offset:864
	v_mad_u16 v14, 0x51, v26, v27
	s_delay_alu instid0(VALU_DEP_1) | instskip(NEXT) | instid1(VALU_DEP_1)
	v_and_b32_e32 v14, 0xffff, v14
	v_lshlrev_b32_e32 v14, 4, v14
	v_add_f64 v[122:123], v[122:123], v[116:117]
	v_add_f64 v[120:121], v[120:121], v[114:115]
	v_fma_f64 v[124:125], v[112:113], s[2:3], v[98:99]
	v_fma_f64 v[132:133], v[112:113], s[12:13], v[98:99]
	;; [unrolled: 1-line block ×4, first 2 shown]
	v_add_f64 v[98:99], v[118:119], v[130:131]
	v_add_f64 v[100:101], v[128:129], v[144:145]
	;; [unrolled: 1-line block ×3, first 2 shown]
	v_add_f64 v[114:115], v[128:129], -v[144:145]
	v_add_f64 v[112:113], v[140:141], v[118:119]
	ds_store_b128 v14, v[120:123]
	ds_store_b128 v14, v[124:127] offset:432
	scratch_store_b32 off, v14, off offset:1400 ; 4-byte Folded Spill
	ds_store_b128 v14, v[132:135] offset:864
	v_fma_f64 v[98:99], v[98:99], -0.5, v[140:141]
	v_fma_f64 v[100:101], v[100:101], -0.5, v[142:143]
	v_add_f64 v[142:143], v[102:103], v[144:145]
	v_add_f64 v[102:103], v[118:119], -v[130:131]
	v_add_f64 v[140:141], v[112:113], v[130:131]
	v_add_f64 v[112:113], v[168:169], v[172:173]
	v_mad_u16 v14, 0x51, v28, v29
	s_delay_alu instid0(VALU_DEP_1) | instskip(NEXT) | instid1(VALU_DEP_1)
	v_and_b32_e32 v14, 0xffff, v14
	v_lshlrev_b32_e32 v14, 4, v14
	v_fma_f64 v[144:145], v[114:115], s[2:3], v[98:99]
	v_fma_f64 v[152:153], v[114:115], s[12:13], v[98:99]
	v_add_f64 v[98:99], v[172:173], v[176:177]
	v_fma_f64 v[146:147], v[102:103], s[12:13], v[100:101]
	v_fma_f64 v[154:155], v[102:103], s[2:3], v[100:101]
	v_add_f64 v[100:101], v[174:175], v[178:179]
	v_add_f64 v[102:103], v[170:171], v[174:175]
	v_add_f64 v[114:115], v[174:175], -v[178:179]
	ds_store_b128 v14, v[140:143]
	ds_store_b128 v14, v[144:147] offset:432
	ds_store_b128 v14, v[152:155] offset:864
	v_fma_f64 v[98:99], v[98:99], -0.5, v[168:169]
	v_add_f64 v[168:169], v[112:113], v[176:177]
	v_fma_f64 v[100:101], v[100:101], -0.5, v[170:171]
	v_add_f64 v[170:171], v[102:103], v[178:179]
	v_add_f64 v[102:103], v[172:173], -v[176:177]
	v_mov_b32_e32 v155, v14
	v_mad_u16 v14, 0x51, v108, v109
	v_mov_b32_e32 v154, v180
	s_delay_alu instid0(VALU_DEP_2) | instskip(NEXT) | instid1(VALU_DEP_2)
	v_and_b32_e32 v14, 0xffff, v14
	v_lshlrev_b32_e32 v20, 5, v154
	s_delay_alu instid0(VALU_DEP_2)
	v_lshlrev_b32_e32 v14, 4, v14
	v_fma_f64 v[176:177], v[114:115], s[12:13], v[98:99]
	v_fma_f64 v[172:173], v[114:115], s[2:3], v[98:99]
	;; [unrolled: 1-line block ×4, first 2 shown]
	ds_store_b128 v14, v[168:171]
	ds_store_b128 v14, v[172:175] offset:432
	scratch_store_b32 off, v14, off offset:1328 ; 4-byte Folded Spill
	ds_store_b128 v14, v[176:179] offset:864
	s_waitcnt lgkmcnt(0)
	s_waitcnt_vscnt null, 0x0
	s_barrier
	buffer_gl0_inv
	global_load_b128 v[21:24], v20, s[10:11] offset:1248
	ds_load_b128 v[14:17], v136 offset:9072
	s_waitcnt vmcnt(0) lgkmcnt(0)
	v_mul_f64 v[18:19], v[16:17], v[23:24]
	scratch_store_b128 off, v[21:24], off offset:1192 ; 16-byte Folded Spill
	v_fma_f64 v[32:33], v[14:15], v[21:22], -v[18:19]
	v_mul_f64 v[14:15], v[14:15], v[23:24]
	s_delay_alu instid0(VALU_DEP_1)
	v_fma_f64 v[28:29], v[16:17], v[21:22], v[14:15]
	global_load_b128 v[20:23], v20, s[10:11] offset:1264
	ds_load_b128 v[14:17], v136 offset:18144
	s_waitcnt vmcnt(0) lgkmcnt(0)
	v_mul_f64 v[18:19], v[16:17], v[22:23]
	scratch_store_b128 off, v[20:23], off offset:1260 ; 16-byte Folded Spill
	v_fma_f64 v[34:35], v[14:15], v[20:21], -v[18:19]
	v_mul_f64 v[14:15], v[14:15], v[22:23]
	s_delay_alu instid0(VALU_DEP_1) | instskip(SKIP_1) | instid1(VALU_DEP_1)
	v_fma_f64 v[30:31], v[16:17], v[20:21], v[14:15]
	v_add_co_u32 v14, s15, 0xffffffee, v154
	v_cndmask_b32_e32 v16, v14, v6, vcc_lo
	v_add_co_ci_u32_e64 v6, null, 0, 0, s14
	v_add_co_ci_u32_e64 v14, null, 0, -1, s15
	s_delay_alu instid0(VALU_DEP_1) | instskip(SKIP_1) | instid1(VALU_DEP_2)
	v_cndmask_b32_e32 v17, v14, v6, vcc_lo
	v_mul_lo_u16 v6, 0xcb, v13
	v_lshlrev_b64 v[14:15], 5, v[16:17]
	ds_load_b128 v[17:20], v136 offset:10080
	v_add_co_u32 v14, vcc_lo, s10, v14
	v_add_co_ci_u32_e32 v15, vcc_lo, s11, v15, vcc_lo
	v_cmp_lt_u16_e64 vcc_lo, 17, v138
	global_load_b128 v[23:26], v[14:15], off offset:1248
	s_waitcnt vmcnt(0) lgkmcnt(0)
	v_mul_f64 v[21:22], v[19:20], v[25:26]
	scratch_store_b128 off, v[23:26], off offset:1352 ; 16-byte Folded Spill
	v_fma_f64 v[44:45], v[17:18], v[23:24], -v[21:22]
	v_mul_f64 v[17:18], v[17:18], v[25:26]
	s_delay_alu instid0(VALU_DEP_1)
	v_fma_f64 v[40:41], v[19:20], v[23:24], v[17:18]
	global_load_b128 v[21:24], v[14:15], off offset:1264
	ds_load_b128 v[17:20], v136 offset:19152
	s_waitcnt vmcnt(0) lgkmcnt(0)
	v_mul_f64 v[14:15], v[19:20], v[23:24]
	scratch_store_b128 off, v[21:24], off offset:1404 ; 16-byte Folded Spill
	v_fma_f64 v[46:47], v[17:18], v[21:22], -v[14:15]
	v_mul_f64 v[14:15], v[17:18], v[23:24]
	v_lshrrev_b16 v17, 14, v6
	s_delay_alu instid0(VALU_DEP_1) | instskip(NEXT) | instid1(VALU_DEP_1)
	v_mul_lo_u16 v6, 0x51, v17
	v_sub_nc_u16 v5, v5, v6
	s_delay_alu instid0(VALU_DEP_1) | instskip(NEXT) | instid1(VALU_DEP_1)
	v_and_b32_e32 v18, 0xff, v5
	v_lshlrev_b32_e32 v13, 5, v18
	global_load_b128 v[23:26], v13, s[10:11] offset:1248
	v_fma_f64 v[42:43], v[19:20], v[21:22], v[14:15]
	ds_load_b128 v[19:22], v136 offset:11088
	s_waitcnt vmcnt(0) lgkmcnt(0)
	v_mul_f64 v[5:6], v[21:22], v[25:26]
	scratch_store_b128 off, v[23:26], off offset:1108 ; 16-byte Folded Spill
	v_fma_f64 v[56:57], v[19:20], v[23:24], -v[5:6]
	v_mul_f64 v[5:6], v[19:20], v[25:26]
	s_delay_alu instid0(VALU_DEP_1)
	v_fma_f64 v[52:53], v[21:22], v[23:24], v[5:6]
	global_load_b128 v[23:26], v13, s[10:11] offset:1264
	ds_load_b128 v[19:22], v136 offset:20160
	s_waitcnt vmcnt(0) lgkmcnt(0)
	v_mul_f64 v[5:6], v[21:22], v[25:26]
	scratch_store_b128 off, v[23:26], off offset:1092 ; 16-byte Folded Spill
	v_fma_f64 v[58:59], v[19:20], v[23:24], -v[5:6]
	v_mul_f64 v[5:6], v[19:20], v[25:26]
	s_delay_alu instid0(VALU_DEP_1) | instskip(SKIP_3) | instid1(VALU_DEP_1)
	v_fma_f64 v[54:55], v[21:22], v[23:24], v[5:6]
	v_mul_lo_u16 v5, 0xcb, v12
	ds_load_b128 v[12:15], v136 offset:12096
	v_lshrrev_b16 v19, 14, v5
	v_mul_lo_u16 v5, 0x51, v19
	s_delay_alu instid0(VALU_DEP_1) | instskip(NEXT) | instid1(VALU_DEP_1)
	v_sub_nc_u16 v5, v137, v5
	v_and_b32_e32 v20, 0xff, v5
	s_delay_alu instid0(VALU_DEP_1)
	v_lshlrev_b32_e32 v21, 5, v20
	global_load_b128 v[22:25], v21, s[10:11] offset:1248
	v_add_f64 v[60:61], v[52:53], v[54:55]
	s_waitcnt vmcnt(0) lgkmcnt(0)
	v_mul_f64 v[5:6], v[14:15], v[24:25]
	scratch_store_b128 off, v[22:25], off offset:1024 ; 16-byte Folded Spill
	v_fma_f64 v[68:69], v[12:13], v[22:23], -v[5:6]
	v_mul_f64 v[5:6], v[12:13], v[24:25]
	s_delay_alu instid0(VALU_DEP_1)
	v_fma_f64 v[64:65], v[14:15], v[22:23], v[5:6]
	global_load_b128 v[21:24], v21, s[10:11] offset:1264
	ds_load_b128 v[12:15], v136 offset:21168
	s_waitcnt vmcnt(0) lgkmcnt(0)
	v_mul_f64 v[5:6], v[14:15], v[23:24]
	scratch_store_b128 off, v[21:24], off offset:1124 ; 16-byte Folded Spill
	v_fma_f64 v[70:71], v[12:13], v[21:22], -v[5:6]
	v_mul_f64 v[5:6], v[12:13], v[23:24]
	s_delay_alu instid0(VALU_DEP_1) | instskip(SKIP_3) | instid1(VALU_DEP_1)
	v_fma_f64 v[66:67], v[14:15], v[21:22], v[5:6]
	v_mul_u32_u24_e32 v5, 0x6523, v11
	ds_load_b128 v[11:14], v136 offset:13104
	v_lshrrev_b32_e32 v5, 21, v5
	v_mul_lo_u16 v5, 0x51, v5
	s_delay_alu instid0(VALU_DEP_1) | instskip(NEXT) | instid1(VALU_DEP_1)
	v_sub_nc_u16 v21, v4, v5
	v_lshlrev_b16 v4, 5, v21
	s_delay_alu instid0(VALU_DEP_1) | instskip(NEXT) | instid1(VALU_DEP_1)
	v_and_b32_e32 v4, 0xffff, v4
	v_add_co_u32 v4, s14, s10, v4
	s_delay_alu instid0(VALU_DEP_1)
	v_add_co_ci_u32_e64 v5, null, s11, 0, s14
	global_load_b128 v[24:27], v[4:5], off offset:1248
	v_add_f64 v[72:73], v[64:65], v[66:67]
	s_waitcnt vmcnt(0) lgkmcnt(0)
	v_mul_f64 v[22:23], v[13:14], v[26:27]
	scratch_store_b128 off, v[24:27], off offset:1228 ; 16-byte Folded Spill
	v_fma_f64 v[80:81], v[11:12], v[24:25], -v[22:23]
	v_mul_f64 v[11:12], v[11:12], v[26:27]
	s_delay_alu instid0(VALU_DEP_1)
	v_fma_f64 v[76:77], v[13:14], v[24:25], v[11:12]
	global_load_b128 v[22:25], v[4:5], off offset:1264
	ds_load_b128 v[11:14], v136 offset:22176
	s_waitcnt vmcnt(0) lgkmcnt(0)
	v_mul_f64 v[4:5], v[13:14], v[24:25]
	scratch_store_b128 off, v[22:25], off offset:1296 ; 16-byte Folded Spill
	v_fma_f64 v[82:83], v[11:12], v[22:23], -v[4:5]
	v_mul_f64 v[4:5], v[11:12], v[24:25]
	s_delay_alu instid0(VALU_DEP_1) | instskip(SKIP_1) | instid1(VALU_DEP_1)
	v_fma_f64 v[11:12], v[13:14], v[22:23], v[4:5]
	v_mul_u32_u24_e32 v4, 0x6523, v10
	v_lshrrev_b32_e32 v22, 21, v4
	s_delay_alu instid0(VALU_DEP_1) | instskip(NEXT) | instid1(VALU_DEP_1)
	v_mul_lo_u16 v4, 0x51, v22
	v_sub_nc_u16 v23, v3, v4
	s_delay_alu instid0(VALU_DEP_1) | instskip(NEXT) | instid1(VALU_DEP_1)
	v_lshlrev_b16 v3, 5, v23
	v_and_b32_e32 v3, 0xffff, v3
	s_delay_alu instid0(VALU_DEP_1) | instskip(NEXT) | instid1(VALU_DEP_1)
	v_add_co_u32 v13, s14, s10, v3
	v_add_co_ci_u32_e64 v14, null, s11, 0, s14
	ds_load_b128 v[3:6], v136 offset:14112
	global_load_b128 v[36:39], v[13:14], off offset:1248
	v_add_f64 v[78:79], v[76:77], v[11:12]
	v_add_f64 v[84:85], v[76:77], -v[11:12]
	s_waitcnt vmcnt(0) lgkmcnt(0)
	v_mul_f64 v[24:25], v[5:6], v[38:39]
	s_delay_alu instid0(VALU_DEP_1)
	v_fma_f64 v[92:93], v[3:4], v[36:37], -v[24:25]
	global_load_b128 v[24:27], v[13:14], off offset:1264
	v_mul_f64 v[3:4], v[3:4], v[38:39]
	scratch_store_b128 off, v[36:39], off offset:1384 ; 16-byte Folded Spill
	v_fma_f64 v[88:89], v[5:6], v[36:37], v[3:4]
	ds_load_b128 v[3:6], v136 offset:23184
	s_waitcnt vmcnt(0)
	scratch_store_b128 off, v[24:27], off offset:1452 ; 16-byte Folded Spill
	s_waitcnt lgkmcnt(0)
	v_mul_f64 v[13:14], v[5:6], v[26:27]
	s_delay_alu instid0(VALU_DEP_1) | instskip(SKIP_1) | instid1(VALU_DEP_1)
	v_fma_f64 v[13:14], v[3:4], v[24:25], -v[13:14]
	v_mul_f64 v[3:4], v[3:4], v[26:27]
	v_fma_f64 v[90:91], v[5:6], v[24:25], v[3:4]
	v_mul_u32_u24_e32 v3, 0x6523, v9
	s_delay_alu instid0(VALU_DEP_1) | instskip(NEXT) | instid1(VALU_DEP_1)
	v_lshrrev_b32_e32 v24, 21, v3
	v_mul_lo_u16 v3, 0x51, v24
	s_delay_alu instid0(VALU_DEP_1) | instskip(NEXT) | instid1(VALU_DEP_1)
	v_sub_nc_u16 v25, v2, v3
	v_lshlrev_b16 v2, 5, v25
	s_delay_alu instid0(VALU_DEP_1) | instskip(NEXT) | instid1(VALU_DEP_1)
	v_and_b32_e32 v2, 0xffff, v2
	v_add_co_u32 v9, s14, s10, v2
	s_delay_alu instid0(VALU_DEP_1)
	v_add_co_ci_u32_e64 v10, null, s11, 0, s14
	ds_load_b128 v[2:5], v136 offset:15120
	global_load_b128 v[36:39], v[9:10], off offset:1248
	v_add_f64 v[94:95], v[88:89], -v[90:91]
	s_waitcnt vmcnt(0) lgkmcnt(0)
	v_mul_f64 v[26:27], v[4:5], v[38:39]
	scratch_store_b128 off, v[36:39], off offset:1544 ; 16-byte Folded Spill
	v_fma_f64 v[100:101], v[2:3], v[36:37], -v[26:27]
	v_mul_f64 v[2:3], v[2:3], v[38:39]
	s_delay_alu instid0(VALU_DEP_1)
	v_fma_f64 v[102:103], v[4:5], v[36:37], v[2:3]
	global_load_b128 v[36:39], v[9:10], off offset:1264
	ds_load_b128 v[2:5], v136 offset:24192
	s_waitcnt vmcnt(0) lgkmcnt(0)
	v_mul_f64 v[9:10], v[4:5], v[38:39]
	scratch_store_b128 off, v[36:39], off offset:1604 ; 16-byte Folded Spill
	v_fma_f64 v[9:10], v[2:3], v[36:37], -v[9:10]
	v_mul_f64 v[2:3], v[2:3], v[38:39]
	s_delay_alu instid0(VALU_DEP_1) | instskip(SKIP_1) | instid1(VALU_DEP_1)
	v_fma_f64 v[5:6], v[4:5], v[36:37], v[2:3]
	v_mul_u32_u24_e32 v2, 0x6523, v8
	v_lshrrev_b32_e32 v27, 21, v2
	s_delay_alu instid0(VALU_DEP_1) | instskip(NEXT) | instid1(VALU_DEP_1)
	v_mul_lo_u16 v2, 0x51, v27
	v_sub_nc_u16 v108, v1, v2
	s_delay_alu instid0(VALU_DEP_1) | instskip(NEXT) | instid1(VALU_DEP_1)
	v_lshlrev_b16 v1, 5, v108
	v_and_b32_e32 v1, 0xffff, v1
	s_delay_alu instid0(VALU_DEP_1) | instskip(NEXT) | instid1(VALU_DEP_1)
	v_add_co_u32 v36, s14, s10, v1
	v_add_co_ci_u32_e64 v37, null, s11, 0, s14
	ds_load_b128 v[1:4], v136 offset:16128
	global_load_b128 v[48:51], v[36:37], off offset:1248
	s_waitcnt vmcnt(0) lgkmcnt(0)
	v_mul_f64 v[38:39], v[3:4], v[50:51]
	scratch_store_b128 off, v[48:51], off offset:1644 ; 16-byte Folded Spill
	v_fma_f64 v[112:113], v[1:2], v[48:49], -v[38:39]
	v_mul_f64 v[1:2], v[1:2], v[50:51]
	s_delay_alu instid0(VALU_DEP_1)
	v_fma_f64 v[114:115], v[3:4], v[48:49], v[1:2]
	global_load_b128 v[48:51], v[36:37], off offset:1264
	ds_load_b128 v[1:4], v136 offset:25200
	s_waitcnt vmcnt(0) lgkmcnt(0)
	v_mul_f64 v[36:37], v[3:4], v[50:51]
	scratch_store_b128 off, v[48:51], off offset:1668 ; 16-byte Folded Spill
	v_fma_f64 v[116:117], v[1:2], v[48:49], -v[36:37]
	v_mul_f64 v[1:2], v[1:2], v[50:51]
	s_delay_alu instid0(VALU_DEP_1) | instskip(SKIP_1) | instid1(VALU_DEP_1)
	v_fma_f64 v[118:119], v[3:4], v[48:49], v[1:2]
	v_mul_u32_u24_e32 v1, 0x6523, v7
	v_lshrrev_b32_e32 v1, 21, v1
	s_delay_alu instid0(VALU_DEP_1) | instskip(NEXT) | instid1(VALU_DEP_1)
	v_mul_lo_u16 v1, 0x51, v1
	v_sub_nc_u16 v26, v0, v1
	s_delay_alu instid0(VALU_DEP_1) | instskip(NEXT) | instid1(VALU_DEP_1)
	v_lshlrev_b16 v0, 5, v26
	v_and_b32_e32 v0, 0xffff, v0
	s_delay_alu instid0(VALU_DEP_1) | instskip(NEXT) | instid1(VALU_DEP_1)
	v_add_co_u32 v7, s14, s10, v0
	v_add_co_ci_u32_e64 v8, null, s11, 0, s14
	ds_load_b128 v[0:3], v136 offset:17136
	global_load_b128 v[48:51], v[7:8], off offset:1248
	s_waitcnt vmcnt(0) lgkmcnt(0)
	v_mul_f64 v[36:37], v[2:3], v[50:51]
	s_delay_alu instid0(VALU_DEP_1)
	v_fma_f64 v[124:125], v[0:1], v[48:49], -v[36:37]
	global_load_b128 v[36:39], v[7:8], off offset:1264
	v_mul_f64 v[0:1], v[0:1], v[50:51]
	scratch_store_b128 off, v[48:51], off offset:1724 ; 16-byte Folded Spill
	v_fma_f64 v[126:127], v[2:3], v[48:49], v[0:1]
	ds_load_b128 v[0:3], v136 offset:26208
	v_add_f64 v[48:49], v[40:41], v[42:43]
	s_waitcnt vmcnt(0)
	scratch_store_b128 off, v[36:39], off offset:1684 ; 16-byte Folded Spill
	s_waitcnt lgkmcnt(0)
	v_mul_f64 v[7:8], v[2:3], v[38:39]
	s_delay_alu instid0(VALU_DEP_1) | instskip(SKIP_2) | instid1(VALU_DEP_2)
	v_fma_f64 v[128:129], v[0:1], v[36:37], -v[7:8]
	v_mul_f64 v[0:1], v[0:1], v[38:39]
	v_add_f64 v[7:8], v[32:33], v[34:35]
	v_fma_f64 v[130:131], v[2:3], v[36:37], v[0:1]
	ds_load_b128 v[0:3], v136
	v_add_f64 v[36:37], v[28:29], v[30:31]
	s_waitcnt lgkmcnt(0)
	v_fma_f64 v[7:8], v[7:8], -0.5, v[0:1]
	v_add_f64 v[0:1], v[0:1], v[32:33]
	s_delay_alu instid0(VALU_DEP_3) | instskip(SKIP_2) | instid1(VALU_DEP_4)
	v_fma_f64 v[38:39], v[36:37], -0.5, v[2:3]
	v_add_f64 v[36:37], v[28:29], -v[30:31]
	v_add_f64 v[2:3], v[2:3], v[28:29]
	v_add_f64 v[28:29], v[0:1], v[34:35]
	v_add_f64 v[0:1], v[32:33], -v[34:35]
	s_delay_alu instid0(VALU_DEP_4)
	v_fma_f64 v[32:33], v[36:37], s[2:3], v[7:8]
	v_fma_f64 v[36:37], v[36:37], s[12:13], v[7:8]
	v_add_f64 v[7:8], v[44:45], v[46:47]
	v_add_f64 v[30:31], v[2:3], v[30:31]
	v_fma_f64 v[34:35], v[0:1], s[12:13], v[38:39]
	v_fma_f64 v[38:39], v[0:1], s[2:3], v[38:39]
	ds_load_b128 v[0:3], v136 offset:1008
	s_waitcnt lgkmcnt(0)
	v_fma_f64 v[7:8], v[7:8], -0.5, v[0:1]
	v_add_f64 v[0:1], v[0:1], v[44:45]
	v_fma_f64 v[50:51], v[48:49], -0.5, v[2:3]
	v_add_f64 v[48:49], v[40:41], -v[42:43]
	v_add_f64 v[2:3], v[2:3], v[40:41]
	s_delay_alu instid0(VALU_DEP_4) | instskip(SKIP_1) | instid1(VALU_DEP_4)
	v_add_f64 v[40:41], v[0:1], v[46:47]
	v_add_f64 v[0:1], v[44:45], -v[46:47]
	v_fma_f64 v[44:45], v[48:49], s[2:3], v[7:8]
	v_fma_f64 v[48:49], v[48:49], s[12:13], v[7:8]
	v_add_f64 v[7:8], v[56:57], v[58:59]
	v_add_f64 v[42:43], v[2:3], v[42:43]
	v_fma_f64 v[46:47], v[0:1], s[12:13], v[50:51]
	v_fma_f64 v[50:51], v[0:1], s[2:3], v[50:51]
	ds_load_b128 v[0:3], v136 offset:2016
	s_waitcnt lgkmcnt(0)
	v_fma_f64 v[7:8], v[7:8], -0.5, v[0:1]
	v_add_f64 v[0:1], v[0:1], v[56:57]
	v_fma_f64 v[62:63], v[60:61], -0.5, v[2:3]
	v_add_f64 v[60:61], v[52:53], -v[54:55]
	v_add_f64 v[2:3], v[2:3], v[52:53]
	s_delay_alu instid0(VALU_DEP_4) | instskip(SKIP_1) | instid1(VALU_DEP_4)
	v_add_f64 v[52:53], v[0:1], v[58:59]
	v_add_f64 v[0:1], v[56:57], -v[58:59]
	;; [unrolled: 16-line block ×3, first 2 shown]
	v_fma_f64 v[68:69], v[72:73], s[2:3], v[7:8]
	v_fma_f64 v[72:73], v[72:73], s[12:13], v[7:8]
	v_add_f64 v[7:8], v[80:81], v[82:83]
	v_add_f64 v[66:67], v[2:3], v[66:67]
	v_fma_f64 v[70:71], v[0:1], s[12:13], v[74:75]
	v_fma_f64 v[74:75], v[0:1], s[2:3], v[74:75]
	ds_load_b128 v[0:3], v136 offset:4032
	s_waitcnt lgkmcnt(0)
	v_fma_f64 v[7:8], v[7:8], -0.5, v[0:1]
	v_add_f64 v[0:1], v[0:1], v[80:81]
	v_fma_f64 v[86:87], v[78:79], -0.5, v[2:3]
	v_add_f64 v[2:3], v[2:3], v[76:77]
	s_delay_alu instid0(VALU_DEP_3)
	v_add_f64 v[76:77], v[0:1], v[82:83]
	v_add_f64 v[0:1], v[80:81], -v[82:83]
	v_fma_f64 v[80:81], v[84:85], s[2:3], v[7:8]
	v_fma_f64 v[84:85], v[84:85], s[12:13], v[7:8]
	v_add_f64 v[7:8], v[92:93], v[13:14]
	v_add_f64 v[78:79], v[2:3], v[11:12]
	;; [unrolled: 1-line block ×3, first 2 shown]
	v_fma_f64 v[82:83], v[0:1], s[12:13], v[86:87]
	v_fma_f64 v[86:87], v[0:1], s[2:3], v[86:87]
	ds_load_b128 v[0:3], v136 offset:5040
	s_waitcnt lgkmcnt(0)
	v_fma_f64 v[7:8], v[7:8], -0.5, v[0:1]
	v_add_f64 v[0:1], v[0:1], v[92:93]
	v_fma_f64 v[11:12], v[11:12], -0.5, v[2:3]
	v_add_f64 v[2:3], v[2:3], v[88:89]
	s_delay_alu instid0(VALU_DEP_4) | instskip(NEXT) | instid1(VALU_DEP_4)
	v_fma_f64 v[96:97], v[94:95], s[12:13], v[7:8]
	v_add_f64 v[88:89], v[0:1], v[13:14]
	v_add_f64 v[0:1], v[92:93], -v[13:14]
	v_fma_f64 v[92:93], v[94:95], s[2:3], v[7:8]
	v_add_f64 v[7:8], v[100:101], v[9:10]
	v_add_f64 v[90:91], v[2:3], v[90:91]
	v_add_f64 v[13:14], v[102:103], -v[5:6]
	v_fma_f64 v[94:95], v[0:1], s[12:13], v[11:12]
	v_fma_f64 v[98:99], v[0:1], s[2:3], v[11:12]
	ds_load_b128 v[0:3], v136 offset:6048
	v_add_f64 v[11:12], v[102:103], v[5:6]
	s_waitcnt lgkmcnt(0)
	v_fma_f64 v[7:8], v[7:8], -0.5, v[0:1]
	v_add_f64 v[0:1], v[0:1], v[100:101]
	s_delay_alu instid0(VALU_DEP_3) | instskip(SKIP_1) | instid1(VALU_DEP_4)
	v_fma_f64 v[11:12], v[11:12], -0.5, v[2:3]
	v_add_f64 v[2:3], v[2:3], v[102:103]
	v_fma_f64 v[168:169], v[13:14], s[2:3], v[7:8]
	s_delay_alu instid0(VALU_DEP_4)
	v_add_f64 v[104:105], v[0:1], v[9:10]
	v_add_f64 v[0:1], v[100:101], -v[9:10]
	v_fma_f64 v[172:173], v[13:14], s[12:13], v[7:8]
	v_add_f64 v[8:9], v[114:115], -v[118:119]
	v_add_f64 v[100:101], v[124:125], -v[128:129]
	v_add_f64 v[106:107], v[2:3], v[5:6]
	v_add_f64 v[6:7], v[114:115], v[118:119]
	v_add_f64 v[4:5], v[112:113], v[116:117]
	v_fma_f64 v[170:171], v[0:1], s[12:13], v[11:12]
	v_fma_f64 v[174:175], v[0:1], s[2:3], v[11:12]
	ds_load_b128 v[0:3], v136 offset:7056
	v_add_f64 v[12:13], v[126:127], -v[130:131]
	s_waitcnt lgkmcnt(0)
	v_fma_f64 v[6:7], v[6:7], -0.5, v[2:3]
	v_add_f64 v[2:3], v[2:3], v[114:115]
	v_fma_f64 v[4:5], v[4:5], -0.5, v[0:1]
	v_add_f64 v[0:1], v[0:1], v[112:113]
	s_delay_alu instid0(VALU_DEP_3) | instskip(SKIP_1) | instid1(VALU_DEP_3)
	v_add_f64 v[238:239], v[2:3], v[118:119]
	v_add_f64 v[2:3], v[112:113], -v[116:117]
	v_add_f64 v[236:237], v[0:1], v[116:117]
	v_fma_f64 v[252:253], v[8:9], s[2:3], v[4:5]
	v_fma_f64 v[0:1], v[8:9], s[12:13], v[4:5]
	v_add_f64 v[8:9], v[124:125], v[128:129]
	v_fma_f64 v[254:255], v[2:3], s[12:13], v[6:7]
	v_fma_f64 v[2:3], v[2:3], s[2:3], v[6:7]
	ds_load_b128 v[4:7], v136 offset:8064
	s_waitcnt lgkmcnt(0)
	s_waitcnt_vscnt null, 0x0
	s_barrier
	buffer_gl0_inv
	ds_store_b128 v136, v[28:31]
	ds_store_b128 v136, v[32:35] offset:1296
	ds_store_b128 v136, v[36:39] offset:2592
	v_cndmask_b32_e64 v28, 0, 0xf3, vcc_lo
	v_cmp_gt_u16_e64 vcc_lo, 54, v138
	s_delay_alu instid0(VALU_DEP_2)
	v_add_lshl_u32 v16, v16, v28, 4
	ds_store_b128 v16, v[40:43]
	ds_store_b128 v16, v[44:47] offset:1296
	scratch_store_b32 off, v16, off offset:1484 ; 4-byte Folded Spill
	ds_store_b128 v16, v[48:51] offset:2592
	v_and_b32_e32 v16, 0xffff, v17
	v_and_b32_e32 v17, 0xffff, v26
	v_fma_f64 v[10:11], v[8:9], -0.5, v[4:5]
	v_add_f64 v[8:9], v[126:127], v[130:131]
	v_add_f64 v[4:5], v[4:5], v[124:125]
	v_mul_u32_u24_e32 v16, 0xf3, v16
	s_delay_alu instid0(VALU_DEP_1)
	v_add_lshl_u32 v16, v16, v18, 4
	ds_store_b128 v16, v[52:55]
	ds_store_b128 v16, v[56:59] offset:1296
	scratch_store_b32 off, v16, off offset:1492 ; 4-byte Folded Spill
	ds_store_b128 v16, v[60:63] offset:2592
	v_and_b32_e32 v16, 0xffff, v19
	v_lshlrev_b32_e32 v18, 4, v17
	s_delay_alu instid0(VALU_DEP_2) | instskip(NEXT) | instid1(VALU_DEP_1)
	v_mul_u32_u24_e32 v16, 0xf3, v16
	v_add_lshl_u32 v16, v16, v20, 4
	ds_store_b128 v16, v[64:67]
	ds_store_b128 v16, v[68:71] offset:1296
	scratch_store_b32 off, v16, off offset:1496 ; 4-byte Folded Spill
	ds_store_b128 v16, v[72:75] offset:2592
	v_and_b32_e32 v16, 0xffff, v21
	v_fma_f64 v[14:15], v[8:9], -0.5, v[6:7]
	v_add_f64 v[6:7], v[6:7], v[126:127]
	s_delay_alu instid0(VALU_DEP_3)
	v_lshlrev_b32_e32 v16, 4, v16
	ds_store_b128 v16, v[76:79] offset:11664
	ds_store_b128 v16, v[80:83] offset:12960
	scratch_store_b32 off, v16, off offset:1516 ; 4-byte Folded Spill
	ds_store_b128 v16, v[84:87] offset:14256
	v_mad_u16 v16, 0xf3, v22, v23
	v_fma_f64 v[8:9], v[12:13], s[2:3], v[10:11]
	v_fma_f64 v[12:13], v[12:13], s[12:13], v[10:11]
	v_add_f64 v[4:5], v[4:5], v[128:129]
	s_delay_alu instid0(VALU_DEP_4) | instskip(NEXT) | instid1(VALU_DEP_1)
	v_and_b32_e32 v16, 0xffff, v16
	v_lshlrev_b32_e32 v16, 4, v16
	ds_store_b128 v16, v[88:91]
	ds_store_b128 v16, v[92:95] offset:1296
	scratch_store_b32 off, v16, off offset:1520 ; 4-byte Folded Spill
	ds_store_b128 v16, v[96:99] offset:2592
	v_mad_u16 v16, 0xf3, v24, v25
                                        ; implicit-def: $vgpr24_vgpr25
	s_delay_alu instid0(VALU_DEP_1) | instskip(SKIP_3) | instid1(VALU_DEP_4)
	v_and_b32_e32 v16, 0xffff, v16
	v_fma_f64 v[10:11], v[100:101], s[12:13], v[14:15]
	v_fma_f64 v[14:15], v[100:101], s[2:3], v[14:15]
	v_add_f64 v[6:7], v[6:7], v[130:131]
	v_lshlrev_b32_e32 v16, 4, v16
	ds_store_b128 v16, v[104:107]
	ds_store_b128 v16, v[168:171] offset:1296
	scratch_store_b32 off, v16, off offset:1560 ; 4-byte Folded Spill
	ds_store_b128 v16, v[172:175] offset:2592
	v_mad_u16 v16, 0xf3, v27, v108
	s_load_b64 s[2:3], s[0:1], 0x38
	s_delay_alu instid0(VALU_DEP_1) | instskip(NEXT) | instid1(VALU_DEP_1)
	v_and_b32_e32 v16, 0xffff, v16
	v_lshlrev_b32_e32 v19, 4, v16
	ds_store_b128 v19, v[236:239]
	ds_store_b128 v19, v[252:255] offset:1296
	scratch_store_b32 off, v19, off offset:1744 ; 4-byte Folded Spill
	ds_store_b128 v19, v[0:3] offset:2592
	ds_store_b128 v18, v[4:7] offset:23328
	ds_store_b128 v18, v[8:11] offset:24624
	scratch_store_b32 off, v18, off offset:1716 ; 4-byte Folded Spill
	ds_store_b128 v18, v[12:15] offset:25920
	s_waitcnt lgkmcnt(0)
	s_waitcnt_vscnt null, 0x0
	s_barrier
	buffer_gl0_inv
	ds_load_b128 v[248:251], v136
	ds_load_b128 v[244:247], v136 offset:1008
	ds_load_b128 v[184:187], v136 offset:7776
	;; [unrolled: 1-line block ×20, first 2 shown]
	s_and_saveexec_b32 s0, vcc_lo
	s_cbranch_execz .LBB0_3
; %bb.2:
	ds_load_b128 v[236:239], v136 offset:3024
	ds_load_b128 v[252:255], v136 offset:6912
	;; [unrolled: 1-line block ×7, first 2 shown]
.LBB0_3:
	s_or_b32 exec_lo, exec_lo, s0
	v_mad_u64_u32 v[28:29], null, 0x60, v154, s[10:11]
	s_mov_b32 s22, 0x37e14327
	s_mov_b32 s23, 0x3fe948f6
	;; [unrolled: 1-line block ×6, first 2 shown]
	global_load_b128 v[32:35], v[28:29], off offset:3840
	v_add_co_u32 v44, s0, 0x17a0, v28
	s_delay_alu instid0(VALU_DEP_1) | instskip(SKIP_1) | instid1(VALU_DEP_1)
	v_add_co_ci_u32_e64 v45, s0, 0, v29, s0
	v_add_co_u32 v48, s0, 0x2f40, v28
	v_add_co_ci_u32_e64 v49, s0, 0, v29, s0
	global_load_b128 v[228:231], v[44:45], off offset:3920
	s_mov_b32 s19, 0xbff2aaaa
	s_mov_b32 s21, 0xbfe77f67
	;; [unrolled: 1-line block ×9, first 2 shown]
	s_waitcnt vmcnt(1) lgkmcnt(12)
	v_mul_f64 v[30:31], v[182:183], v[34:35]
	scratch_store_b128 off, v[32:35], off offset:1468 ; 16-byte Folded Spill
	v_fma_f64 v[78:79], v[180:181], v[32:33], -v[30:31]
	v_mul_f64 v[30:31], v[180:181], v[34:35]
	s_delay_alu instid0(VALU_DEP_1) | instskip(SKIP_3) | instid1(VALU_DEP_1)
	v_fma_f64 v[76:77], v[182:183], v[32:33], v[30:31]
	global_load_b128 v[180:183], v[28:29], off offset:3856
	s_waitcnt vmcnt(0)
	v_mul_f64 v[30:31], v[186:187], v[182:183]
	v_fma_f64 v[82:83], v[184:185], v[180:181], -v[30:31]
	v_mul_f64 v[30:31], v[184:185], v[182:183]
	s_delay_alu instid0(VALU_DEP_1) | instskip(SKIP_3) | instid1(VALU_DEP_1)
	v_fma_f64 v[80:81], v[186:187], v[180:181], v[30:31]
	global_load_b128 v[184:187], v[28:29], off offset:3904
	s_waitcnt vmcnt(0) lgkmcnt(4)
	v_mul_f64 v[30:31], v[190:191], v[186:187]
	v_fma_f64 v[86:87], v[188:189], v[184:185], -v[30:31]
	v_mul_f64 v[30:31], v[188:189], v[186:187]
	s_delay_alu instid0(VALU_DEP_1) | instskip(SKIP_3) | instid1(VALU_DEP_1)
	v_fma_f64 v[84:85], v[190:191], v[184:185], v[30:31]
	global_load_b128 v[188:191], v[28:29], off offset:3920
	s_waitcnt vmcnt(0)
	v_mul_f64 v[30:31], v[178:179], v[190:191]
	v_fma_f64 v[90:91], v[176:177], v[188:189], -v[30:31]
	v_mul_f64 v[30:31], v[176:177], v[190:191]
	s_delay_alu instid0(VALU_DEP_1) | instskip(SKIP_3) | instid1(VALU_DEP_1)
	v_fma_f64 v[88:89], v[178:179], v[188:189], v[30:31]
	global_load_b128 v[176:179], v[28:29], off offset:3872
	s_waitcnt vmcnt(0)
	;; [unrolled: 7-line block ×5, first 2 shown]
	v_mul_f64 v[30:31], v[206:207], v[218:219]
	v_fma_f64 v[58:59], v[204:205], v[216:217], -v[30:31]
	v_mul_f64 v[30:31], v[204:205], v[218:219]
	s_delay_alu instid0(VALU_DEP_1) | instskip(SKIP_3) | instid1(VALU_DEP_1)
	v_fma_f64 v[56:57], v[206:207], v[216:217], v[30:31]
	global_load_b128 v[204:207], v[44:45], off offset:3904
	s_waitcnt vmcnt(0) lgkmcnt(2)
	v_mul_f64 v[30:31], v[226:227], v[206:207]
	v_fma_f64 v[62:63], v[224:225], v[204:205], -v[30:31]
	v_mul_f64 v[30:31], v[224:225], v[206:207]
	s_delay_alu instid0(VALU_DEP_2) | instskip(NEXT) | instid1(VALU_DEP_2)
	v_add_f64 v[114:115], v[58:59], v[62:63]
	v_fma_f64 v[60:61], v[226:227], v[204:205], v[30:31]
	v_mul_f64 v[30:31], v[222:223], v[230:231]
	global_load_b128 v[224:227], v[48:49], off offset:3856
	v_add_f64 v[126:127], v[56:57], v[60:61]
	v_fma_f64 v[66:67], v[220:221], v[228:229], -v[30:31]
	v_mul_f64 v[30:31], v[220:221], v[230:231]
	s_delay_alu instid0(VALU_DEP_2) | instskip(NEXT) | instid1(VALU_DEP_2)
	v_add_f64 v[112:113], v[54:55], v[66:67]
	v_fma_f64 v[64:65], v[222:223], v[228:229], v[30:31]
	global_load_b128 v[220:223], v[48:49], off offset:3840
	v_add_f64 v[118:119], v[114:115], v[112:113]
	v_add_f64 v[124:125], v[52:53], v[64:65]
	s_delay_alu instid0(VALU_DEP_1) | instskip(SKIP_2) | instid1(VALU_DEP_1)
	v_add_f64 v[130:131], v[126:127], v[124:125]
	s_waitcnt vmcnt(1)
	v_mul_f64 v[32:33], v[202:203], v[226:227]
	v_fma_f64 v[34:35], v[200:201], v[224:225], -v[32:33]
	v_mul_f64 v[32:33], v[200:201], v[226:227]
	s_waitcnt vmcnt(0)
	v_mul_f64 v[28:29], v[214:215], v[222:223]
	s_delay_alu instid0(VALU_DEP_2) | instskip(SKIP_3) | instid1(VALU_DEP_1)
	v_fma_f64 v[32:33], v[202:203], v[224:225], v[32:33]
	global_load_b128 v[200:203], v[44:45], off offset:3872
	v_fma_f64 v[30:31], v[212:213], v[220:221], -v[28:29]
	v_mul_f64 v[28:29], v[212:213], v[222:223]
	v_fma_f64 v[28:29], v[214:215], v[220:221], v[28:29]
	global_load_b128 v[212:215], v[48:49], off offset:3904
	s_waitcnt vmcnt(0) lgkmcnt(1)
	v_mul_f64 v[36:37], v[234:235], v[214:215]
	s_delay_alu instid0(VALU_DEP_1) | instskip(SKIP_1) | instid1(VALU_DEP_2)
	v_fma_f64 v[38:39], v[232:233], v[212:213], -v[36:37]
	v_mul_f64 v[36:37], v[232:233], v[214:215]
	v_add_f64 v[144:145], v[34:35], v[38:39]
	s_delay_alu instid0(VALU_DEP_2) | instskip(SKIP_4) | instid1(VALU_DEP_1)
	v_fma_f64 v[36:37], v[234:235], v[212:213], v[36:37]
	global_load_b128 v[232:235], v[48:49], off offset:3920
	v_add_f64 v[120:121], v[32:33], v[36:37]
	s_waitcnt vmcnt(0) lgkmcnt(0)
	v_mul_f64 v[40:41], v[198:199], v[234:235]
	v_fma_f64 v[42:43], v[196:197], v[232:233], -v[40:41]
	v_mul_f64 v[40:41], v[196:197], v[234:235]
	s_delay_alu instid0(VALU_DEP_1) | instskip(SKIP_4) | instid1(VALU_DEP_3)
	v_fma_f64 v[40:41], v[198:199], v[232:233], v[40:41]
	global_load_b128 v[196:199], v[44:45], off offset:3888
	v_mul_f64 v[46:47], v[174:175], v[202:203]
	v_add_f64 v[110:111], v[28:29], v[40:41]
	v_add_f64 v[28:29], v[28:29], -v[40:41]
	v_fma_f64 v[70:71], v[172:173], v[200:201], -v[46:47]
	v_mul_f64 v[46:47], v[172:173], v[202:203]
	s_delay_alu instid0(VALU_DEP_4) | instskip(NEXT) | instid1(VALU_DEP_2)
	v_add_f64 v[132:133], v[120:121], v[110:111]
	v_fma_f64 v[68:69], v[174:175], v[200:201], v[46:47]
	global_load_b128 v[172:175], v[48:49], off offset:3872
	s_waitcnt vmcnt(1)
	v_mul_f64 v[44:45], v[170:171], v[198:199]
	s_delay_alu instid0(VALU_DEP_1) | instskip(SKIP_1) | instid1(VALU_DEP_2)
	v_fma_f64 v[74:75], v[168:169], v[196:197], -v[44:45]
	v_mul_f64 v[44:45], v[168:169], v[198:199]
	v_add_f64 v[116:117], v[70:71], v[74:75]
	s_delay_alu instid0(VALU_DEP_2)
	v_fma_f64 v[72:73], v[170:171], v[196:197], v[44:45]
	global_load_b128 v[168:171], v[48:49], off offset:3888
	s_waitcnt vmcnt(1)
	v_mul_f64 v[44:45], v[22:23], v[174:175]
	v_add_f64 v[118:119], v[116:117], v[118:119]
	v_add_f64 v[128:129], v[68:69], v[72:73]
	s_delay_alu instid0(VALU_DEP_3) | instskip(SKIP_1) | instid1(VALU_DEP_4)
	v_fma_f64 v[46:47], v[20:21], v[172:173], -v[44:45]
	v_mul_f64 v[20:21], v[20:21], v[174:175]
	v_add_f64 v[244:245], v[244:245], v[118:119]
	s_delay_alu instid0(VALU_DEP_4) | instskip(NEXT) | instid1(VALU_DEP_3)
	v_add_f64 v[130:131], v[128:129], v[130:131]
	v_fma_f64 v[44:45], v[22:23], v[172:173], v[20:21]
	s_delay_alu instid0(VALU_DEP_2) | instskip(SKIP_2) | instid1(VALU_DEP_1)
	v_add_f64 v[246:247], v[246:247], v[130:131]
	s_waitcnt vmcnt(0)
	v_mul_f64 v[20:21], v[18:19], v[170:171]
	v_fma_f64 v[50:51], v[16:17], v[168:169], -v[20:21]
	v_mul_f64 v[16:17], v[16:17], v[170:171]
	s_delay_alu instid0(VALU_DEP_2) | instskip(NEXT) | instid1(VALU_DEP_2)
	v_add_f64 v[146:147], v[46:47], v[50:51]
	v_fma_f64 v[48:49], v[18:19], v[168:169], v[16:17]
	v_subrev_nc_u32_e32 v16, 54, v154
	s_delay_alu instid0(VALU_DEP_1) | instskip(SKIP_1) | instid1(VALU_DEP_2)
	v_cndmask_b32_e32 v16, v16, v137, vcc_lo
	v_add_f64 v[137:138], v[30:31], v[42:43]
	v_mul_i32_i24_e32 v17, 0x60, v16
	v_mul_hi_i32_i24_e32 v16, 0x60, v16
	s_delay_alu instid0(VALU_DEP_2) | instskip(NEXT) | instid1(VALU_DEP_1)
	v_add_co_u32 v100, s0, s10, v17
	v_add_co_ci_u32_e64 v101, s0, s11, v16, s0
	s_mov_b32 s0, 0x429ad128
	s_mov_b32 s1, 0x3febfeb5
	;; [unrolled: 1-line block ×3, first 2 shown]
	s_clause 0x1
	global_load_b128 v[20:23], v[100:101], off offset:3840
	global_load_b128 v[102:105], v[100:101], off offset:3856
	s_mov_b32 s11, 0x3fe77f67
	s_mov_b32 s20, s10
	v_add_f64 v[122:123], v[44:45], v[48:49]
	v_add_f64 v[108:109], v[144:145], v[137:138]
	v_add_f64 v[40:41], v[144:145], -v[137:138]
	s_delay_alu instid0(VALU_DEP_3) | instskip(NEXT) | instid1(VALU_DEP_3)
	v_add_f64 v[132:133], v[122:123], v[132:133]
	v_add_f64 v[108:109], v[146:147], v[108:109]
	s_delay_alu instid0(VALU_DEP_2) | instskip(NEXT) | instid1(VALU_DEP_2)
	v_add_f64 v[242:243], v[242:243], v[132:133]
	v_add_f64 v[240:241], v[240:241], v[108:109]
	s_delay_alu instid0(VALU_DEP_1)
	v_fma_f64 v[108:109], v[108:109], s[18:19], v[240:241]
	s_waitcnt vmcnt(1)
	v_mul_f64 v[16:17], v[254:255], v[22:23]
	v_mul_f64 v[18:19], v[252:253], v[22:23]
	scratch_store_b128 off, v[20:23], off offset:1748 ; 16-byte Folded Spill
	s_waitcnt vmcnt(0)
	scratch_store_b128 off, v[102:105], off offset:1764 ; 16-byte Folded Spill
	v_fma_f64 v[16:17], v[252:253], v[20:21], -v[16:17]
	v_fma_f64 v[18:19], v[254:255], v[20:21], v[18:19]
	v_mul_f64 v[20:21], v[2:3], v[104:105]
	s_delay_alu instid0(VALU_DEP_1) | instskip(SKIP_1) | instid1(VALU_DEP_1)
	v_fma_f64 v[20:21], v[0:1], v[102:103], -v[20:21]
	v_mul_f64 v[0:1], v[0:1], v[104:105]
	v_fma_f64 v[22:23], v[2:3], v[102:103], v[0:1]
	global_load_b128 v[102:105], v[100:101], off offset:3920
	v_add_f64 v[2:3], v[82:83], v[86:87]
	v_add_f64 v[82:83], v[82:83], -v[86:87]
	v_add_f64 v[86:87], v[98:99], -v[94:95]
	s_waitcnt vmcnt(0)
	v_mul_f64 v[0:1], v[26:27], v[104:105]
	scratch_store_b128 off, v[102:105], off offset:1780 ; 16-byte Folded Spill
	v_fma_f64 v[252:253], v[24:25], v[102:103], -v[0:1]
	v_mul_f64 v[0:1], v[24:25], v[104:105]
	s_delay_alu instid0(VALU_DEP_1)
	v_fma_f64 v[24:25], v[26:27], v[102:103], v[0:1]
	global_load_b128 v[102:105], v[100:101], off offset:3904
	s_waitcnt vmcnt(0)
	v_mul_f64 v[0:1], v[14:15], v[104:105]
	scratch_store_b128 off, v[102:105], off offset:1796 ; 16-byte Folded Spill
	v_fma_f64 v[26:27], v[12:13], v[102:103], -v[0:1]
	v_mul_f64 v[0:1], v[12:13], v[104:105]
	s_delay_alu instid0(VALU_DEP_1)
	v_fma_f64 v[12:13], v[14:15], v[102:103], v[0:1]
	global_load_b128 v[102:105], v[100:101], off offset:3872
	s_waitcnt vmcnt(0)
	v_mul_f64 v[0:1], v[6:7], v[104:105]
	scratch_store_b128 off, v[102:105], off offset:1812 ; 16-byte Folded Spill
	v_fma_f64 v[14:15], v[4:5], v[102:103], -v[0:1]
	v_mul_f64 v[0:1], v[4:5], v[104:105]
	v_add_f64 v[104:105], v[92:93], v[96:97]
	s_delay_alu instid0(VALU_DEP_2)
	v_fma_f64 v[4:5], v[6:7], v[102:103], v[0:1]
	global_load_b128 v[100:103], v[100:101], off offset:3888
	s_waitcnt vmcnt(0)
	v_mul_f64 v[0:1], v[10:11], v[102:103]
	scratch_store_b128 off, v[100:103], off offset:1828 ; 16-byte Folded Spill
	v_fma_f64 v[254:255], v[8:9], v[100:101], -v[0:1]
	v_mul_f64 v[0:1], v[8:9], v[102:103]
	v_add_f64 v[102:103], v[80:81], v[84:85]
	v_add_f64 v[8:9], v[94:95], v[98:99]
	s_delay_alu instid0(VALU_DEP_3)
	v_fma_f64 v[6:7], v[10:11], v[100:101], v[0:1]
	v_add_f64 v[0:1], v[78:79], v[90:91]
	v_add_f64 v[100:101], v[76:77], v[88:89]
	v_add_f64 v[90:91], v[78:79], -v[90:91]
	v_add_f64 v[78:79], v[80:81], -v[84:85]
	;; [unrolled: 1-line block ×5, first 2 shown]
	v_add_f64 v[76:77], v[86:87], v[82:83]
	v_add_f64 v[80:81], v[86:87], -v[82:83]
	v_add_f64 v[10:11], v[2:3], v[0:1]
	v_add_f64 v[106:107], v[102:103], v[100:101]
	v_add_f64 v[92:93], v[2:3], -v[0:1]
	v_add_f64 v[2:3], v[8:9], -v[2:3]
	;; [unrolled: 1-line block ×6, first 2 shown]
	v_add_f64 v[82:83], v[84:85], v[78:79]
	v_add_f64 v[102:103], v[84:85], -v[78:79]
	v_add_f64 v[139:140], v[76:77], v[90:91]
	v_mul_f64 v[78:79], v[96:97], s[12:13]
	v_mul_f64 v[148:149], v[80:81], s[14:15]
	v_add_f64 v[10:11], v[8:9], v[10:11]
	v_add_f64 v[106:107], v[104:105], v[106:107]
	v_add_f64 v[8:9], v[100:101], -v[104:105]
	v_add_f64 v[100:101], v[90:91], -v[86:87]
	;; [unrolled: 1-line block ×3, first 2 shown]
	v_mul_f64 v[84:85], v[98:99], s[0:1]
	v_mul_f64 v[86:87], v[134:135], s[0:1]
	;; [unrolled: 1-line block ×3, first 2 shown]
	v_add_f64 v[141:142], v[82:83], v[88:89]
	v_mul_f64 v[76:77], v[2:3], s[12:13]
	v_mul_f64 v[102:103], v[102:103], s[14:15]
	v_fma_f64 v[78:79], v[94:95], s[10:11], -v[78:79]
	v_fma_f64 v[80:81], v[98:99], s[0:1], -v[148:149]
	v_add_f64 v[248:249], v[248:249], v[10:11]
	v_add_f64 v[250:251], v[250:251], v[106:107]
	v_mul_f64 v[8:9], v[8:9], s[22:23]
	v_fma_f64 v[84:85], v[100:101], s[26:27], -v[84:85]
	v_fma_f64 v[86:87], v[104:105], s[26:27], -v[86:87]
	;; [unrolled: 1-line block ×3, first 2 shown]
	v_fma_f64 v[0:1], v[2:3], s[12:13], v[0:1]
	v_fma_f64 v[76:77], v[92:93], s[10:11], -v[76:77]
	v_fma_f64 v[82:83], v[139:140], s[16:17], v[80:81]
	v_fma_f64 v[80:81], v[134:135], s[0:1], -v[102:103]
	v_fma_f64 v[10:11], v[10:11], s[18:19], v[248:249]
	v_fma_f64 v[106:107], v[106:107], s[18:19], v[250:251]
	v_fma_f64 v[90:91], v[94:95], s[20:21], -v[8:9]
	v_fma_f64 v[2:3], v[96:97], s[12:13], v[8:9]
	v_fma_f64 v[92:93], v[139:140], s[16:17], v[84:85]
	;; [unrolled: 1-line block ×4, first 2 shown]
	v_add_f64 v[88:89], v[88:89], v[10:11]
	v_add_f64 v[0:1], v[0:1], v[10:11]
	;; [unrolled: 1-line block ×5, first 2 shown]
	v_add_f64 v[10:11], v[56:57], -v[60:61]
	v_add_f64 v[60:61], v[72:73], -v[68:69]
	;; [unrolled: 1-line block ×3, first 2 shown]
	v_add_f64 v[152:153], v[78:79], v[106:107]
	v_fma_f64 v[106:107], v[130:131], s[18:19], v[246:247]
	v_add_f64 v[84:85], v[94:95], v[88:89]
	v_add_f64 v[88:89], v[88:89], -v[94:95]
	v_add_f64 v[86:87], v[90:91], -v[92:93]
	v_add_f64 v[90:91], v[92:93], v[90:91]
	v_fma_f64 v[92:93], v[100:101], s[24:25], v[148:149]
	v_fma_f64 v[94:95], v[104:105], s[24:25], v[102:103]
	v_add_f64 v[56:57], v[60:61], v[10:11]
	v_fma_f64 v[104:105], v[118:119], s[18:19], v[244:245]
	v_add_f64 v[76:77], v[150:151], -v[80:81]
	v_add_f64 v[78:79], v[82:83], v[152:153]
	v_add_f64 v[80:81], v[80:81], v[150:151]
	v_add_f64 v[82:83], v[152:153], -v[82:83]
	v_fma_f64 v[8:9], v[139:140], s[16:17], v[92:93]
	v_fma_f64 v[96:97], v[141:142], s[16:17], v[94:95]
	s_delay_alu instid0(VALU_DEP_2) | instskip(NEXT) | instid1(VALU_DEP_2)
	v_add_f64 v[94:95], v[2:3], -v[8:9]
	v_add_f64 v[92:93], v[96:97], v[0:1]
	v_add_f64 v[96:97], v[0:1], -v[96:97]
	v_add_f64 v[98:99], v[8:9], v[2:3]
	v_add_f64 v[0:1], v[58:59], -v[62:63]
	v_add_f64 v[2:3], v[74:75], -v[70:71]
	v_add_f64 v[8:9], v[54:55], -v[66:67]
	v_add_f64 v[62:63], v[52:53], -v[64:65]
	v_add_f64 v[58:59], v[60:61], -v[10:11]
	v_add_f64 v[64:65], v[114:115], -v[112:113]
	v_add_f64 v[112:113], v[112:113], -v[116:117]
	v_add_f64 v[66:67], v[126:127], -v[124:125]
	v_add_f64 v[70:71], v[128:129], -v[126:127]
	v_add_f64 v[54:55], v[2:3], -v[0:1]
	v_add_f64 v[52:53], v[2:3], v[0:1]
	v_add_f64 v[0:1], v[0:1], -v[8:9]
	v_add_f64 v[10:11], v[10:11], -v[62:63]
	v_add_f64 v[74:75], v[56:57], v[62:63]
	v_mul_f64 v[102:103], v[58:59], s[14:15]
	v_add_f64 v[2:3], v[8:9], -v[2:3]
	v_mul_f64 v[112:113], v[112:113], s[22:23]
	v_mul_f64 v[100:101], v[54:55], s[14:15]
	v_add_f64 v[72:73], v[52:53], v[8:9]
	v_mul_f64 v[52:53], v[68:69], s[12:13]
	v_add_f64 v[8:9], v[62:63], -v[60:61]
	v_mul_f64 v[54:55], v[70:71], s[12:13]
	v_fma_f64 v[60:61], v[64:65], s[20:21], -v[112:113]
	v_fma_f64 v[56:57], v[0:1], s[0:1], -v[100:101]
	v_mul_f64 v[0:1], v[0:1], s[0:1]
	v_fma_f64 v[52:53], v[64:65], s[10:11], -v[52:53]
	v_fma_f64 v[54:55], v[66:67], s[10:11], -v[54:55]
	v_add_f64 v[64:65], v[60:61], v[104:105]
	v_fma_f64 v[58:59], v[72:73], s[16:17], v[56:57]
	v_fma_f64 v[56:57], v[10:11], s[0:1], -v[102:103]
	v_add_f64 v[114:115], v[52:53], v[104:105]
	v_mul_f64 v[10:11], v[10:11], s[0:1]
	v_fma_f64 v[0:1], v[2:3], s[26:27], -v[0:1]
	v_add_f64 v[118:119], v[54:55], v[106:107]
	v_fma_f64 v[56:57], v[74:75], s[16:17], v[56:57]
	s_delay_alu instid0(VALU_DEP_4) | instskip(NEXT) | instid1(VALU_DEP_4)
	v_fma_f64 v[10:11], v[8:9], s[26:27], -v[10:11]
	v_fma_f64 v[0:1], v[72:73], s[16:17], v[0:1]
	s_delay_alu instid0(VALU_DEP_4)
	v_add_f64 v[54:55], v[58:59], v[118:119]
	v_add_f64 v[58:59], v[118:119], -v[58:59]
	v_add_f64 v[52:53], v[114:115], -v[56:57]
	v_add_f64 v[56:57], v[56:57], v[114:115]
	v_add_f64 v[114:115], v[124:125], -v[128:129]
	v_fma_f64 v[10:11], v[74:75], s[16:17], v[10:11]
	s_delay_alu instid0(VALU_DEP_2) | instskip(NEXT) | instid1(VALU_DEP_2)
	v_mul_f64 v[114:115], v[114:115], s[22:23]
	v_add_f64 v[60:61], v[10:11], v[64:65]
	v_add_f64 v[64:65], v[64:65], -v[10:11]
	s_delay_alu instid0(VALU_DEP_3) | instskip(SKIP_1) | instid1(VALU_DEP_2)
	v_fma_f64 v[62:63], v[66:67], s[20:21], -v[114:115]
	v_fma_f64 v[10:11], v[70:71], s[12:13], v[114:115]
	v_add_f64 v[66:67], v[62:63], v[106:107]
	s_delay_alu instid0(VALU_DEP_2) | instskip(NEXT) | instid1(VALU_DEP_2)
	v_add_f64 v[10:11], v[10:11], v[106:107]
	v_add_f64 v[62:63], v[66:67], -v[0:1]
	v_add_f64 v[66:67], v[0:1], v[66:67]
	v_fma_f64 v[0:1], v[2:3], s[24:25], v[100:101]
	v_fma_f64 v[2:3], v[8:9], s[24:25], v[102:103]
	;; [unrolled: 1-line block ×4, first 2 shown]
	s_delay_alu instid0(VALU_DEP_4) | instskip(NEXT) | instid1(VALU_DEP_4)
	v_fma_f64 v[0:1], v[72:73], s[16:17], v[0:1]
	v_fma_f64 v[2:3], v[74:75], s[16:17], v[2:3]
	s_delay_alu instid0(VALU_DEP_4) | instskip(NEXT) | instid1(VALU_DEP_3)
	v_add_f64 v[8:9], v[8:9], v[104:105]
	v_add_f64 v[70:71], v[10:11], -v[0:1]
	v_add_f64 v[74:75], v[0:1], v[10:11]
	s_delay_alu instid0(VALU_DEP_3)
	v_add_f64 v[68:69], v[2:3], v[8:9]
	v_add_f64 v[72:73], v[8:9], -v[2:3]
	v_add_f64 v[0:1], v[34:35], -v[38:39]
	;; [unrolled: 1-line block ×10, first 2 shown]
	v_add_f64 v[32:33], v[2:3], v[0:1]
	v_add_f64 v[0:1], v[0:1], -v[8:9]
	v_add_f64 v[36:37], v[30:31], v[10:11]
	v_add_f64 v[38:39], v[30:31], -v[10:11]
	v_add_f64 v[10:11], v[10:11], -v[28:29]
	v_add_f64 v[2:3], v[8:9], -v[2:3]
	v_mul_f64 v[104:105], v[34:35], s[14:15]
	v_add_f64 v[100:101], v[32:33], v[8:9]
	v_mul_f64 v[32:33], v[48:49], s[12:13]
	v_add_f64 v[102:103], v[36:37], v[28:29]
	v_mul_f64 v[106:107], v[38:39], s[14:15]
	v_mul_f64 v[34:35], v[50:51], s[12:13]
	v_add_f64 v[8:9], v[28:29], -v[30:31]
	v_fma_f64 v[36:37], v[0:1], s[0:1], -v[104:105]
	v_mul_f64 v[0:1], v[0:1], s[0:1]
	v_fma_f64 v[32:33], v[40:41], s[10:11], -v[32:33]
	v_fma_f64 v[34:35], v[42:43], s[10:11], -v[34:35]
	s_delay_alu instid0(VALU_DEP_4) | instskip(SKIP_1) | instid1(VALU_DEP_4)
	v_fma_f64 v[38:39], v[100:101], s[16:17], v[36:37]
	v_fma_f64 v[36:37], v[10:11], s[0:1], -v[106:107]
	v_add_f64 v[44:45], v[32:33], v[108:109]
	v_mul_f64 v[10:11], v[10:11], s[0:1]
	v_fma_f64 v[0:1], v[2:3], s[26:27], -v[0:1]
	v_add_f64 v[46:47], v[34:35], v[112:113]
	v_fma_f64 v[36:37], v[102:103], s[16:17], v[36:37]
	s_delay_alu instid0(VALU_DEP_4) | instskip(NEXT) | instid1(VALU_DEP_4)
	v_fma_f64 v[10:11], v[8:9], s[26:27], -v[10:11]
	v_fma_f64 v[0:1], v[100:101], s[16:17], v[0:1]
	s_delay_alu instid0(VALU_DEP_4)
	v_add_f64 v[34:35], v[38:39], v[46:47]
	v_add_f64 v[38:39], v[46:47], -v[38:39]
	v_add_f64 v[46:47], v[110:111], -v[122:123]
	;; [unrolled: 1-line block ×3, first 2 shown]
	v_add_f64 v[36:37], v[36:37], v[44:45]
	v_add_f64 v[44:45], v[137:138], -v[146:147]
	v_fma_f64 v[10:11], v[102:103], s[16:17], v[10:11]
	v_mul_f64 v[30:31], v[46:47], s[22:23]
	s_delay_alu instid0(VALU_DEP_3) | instskip(NEXT) | instid1(VALU_DEP_2)
	v_mul_f64 v[28:29], v[44:45], s[22:23]
	v_fma_f64 v[42:43], v[42:43], s[20:21], -v[30:31]
	s_delay_alu instid0(VALU_DEP_2) | instskip(NEXT) | instid1(VALU_DEP_2)
	v_fma_f64 v[40:41], v[40:41], s[20:21], -v[28:29]
	v_add_f64 v[46:47], v[42:43], v[112:113]
	s_delay_alu instid0(VALU_DEP_2) | instskip(NEXT) | instid1(VALU_DEP_2)
	v_add_f64 v[44:45], v[40:41], v[108:109]
	v_add_f64 v[42:43], v[46:47], -v[0:1]
	v_add_f64 v[46:47], v[0:1], v[46:47]
	v_fma_f64 v[0:1], v[2:3], s[24:25], v[104:105]
	v_fma_f64 v[2:3], v[8:9], s[24:25], v[106:107]
	;; [unrolled: 1-line block ×3, first 2 shown]
	v_add_f64 v[28:29], v[18:19], v[24:25]
	v_add_f64 v[24:25], v[18:19], -v[24:25]
	v_add_f64 v[40:41], v[10:11], v[44:45]
	v_add_f64 v[44:45], v[44:45], -v[10:11]
	v_fma_f64 v[10:11], v[50:51], s[12:13], v[30:31]
	v_add_f64 v[30:31], v[22:23], v[12:13]
	v_fma_f64 v[0:1], v[100:101], s[16:17], v[0:1]
	v_fma_f64 v[2:3], v[102:103], s[16:17], v[2:3]
	v_add_f64 v[8:9], v[8:9], v[108:109]
	v_add_f64 v[100:101], v[14:15], v[254:255]
	v_add_f64 v[14:15], v[254:255], -v[14:15]
	v_add_f64 v[108:109], v[4:5], v[6:7]
	v_add_f64 v[4:5], v[6:7], -v[4:5]
	v_add_f64 v[10:11], v[10:11], v[112:113]
	v_add_f64 v[48:49], v[2:3], v[8:9]
	v_add_f64 v[104:105], v[8:9], -v[2:3]
	v_add_f64 v[8:9], v[16:17], v[252:253]
	s_delay_alu instid0(VALU_DEP_4)
	v_add_f64 v[50:51], v[10:11], -v[0:1]
	v_add_f64 v[106:107], v[0:1], v[10:11]
	v_add_f64 v[10:11], v[20:21], v[26:27]
	ds_store_b128 v136, v[248:251]
	ds_store_b128 v136, v[244:247] offset:1008
	ds_store_b128 v136, v[240:243] offset:2016
	;; [unrolled: 1-line block ×20, first 2 shown]
	v_add_f64 v[42:43], v[16:17], -v[252:253]
	v_add_f64 v[48:49], v[20:21], -v[26:27]
	v_add_f64 v[26:27], v[22:23], -v[12:13]
	v_add_f64 v[6:7], v[8:9], -v[100:101]
	v_add_f64 v[12:13], v[28:29], -v[108:109]
	v_add_f64 v[46:47], v[108:109], -v[30:31]
	v_add_f64 v[0:1], v[10:11], v[8:9]
	v_add_f64 v[34:35], v[100:101], -v[10:11]
	v_add_f64 v[16:17], v[42:43], -v[14:15]
	v_add_f64 v[18:19], v[14:15], v[48:49]
	v_add_f64 v[50:51], v[14:15], -v[48:49]
	v_add_f64 v[14:15], v[24:25], -v[4:5]
	;; [unrolled: 1-line block ×3, first 2 shown]
	v_mul_f64 v[20:21], v[6:7], s[22:23]
	v_mul_f64 v[36:37], v[12:13], s[22:23]
	v_add_f64 v[102:103], v[100:101], v[0:1]
	v_add_f64 v[0:1], v[30:31], v[28:29]
	v_mul_f64 v[32:33], v[16:17], s[24:25]
	v_add_f64 v[16:17], v[4:5], v[26:27]
	v_add_f64 v[44:45], v[18:19], v[42:43]
	v_mul_f64 v[22:23], v[14:15], s[24:25]
	v_fma_f64 v[12:13], v[34:35], s[12:13], v[20:21]
	v_fma_f64 v[14:15], v[46:47], s[12:13], v[36:37]
	v_add_f64 v[110:111], v[108:109], v[0:1]
	v_add_f64 v[0:1], v[236:237], v[102:103]
	v_fma_f64 v[4:5], v[50:51], s[14:15], v[32:33]
	v_add_f64 v[40:41], v[16:17], v[24:25]
	s_delay_alu instid0(VALU_DEP_4) | instskip(NEXT) | instid1(VALU_DEP_4)
	v_add_f64 v[2:3], v[238:239], v[110:111]
	v_fma_f64 v[16:17], v[102:103], s[18:19], v[0:1]
	s_delay_alu instid0(VALU_DEP_4) | instskip(SKIP_1) | instid1(VALU_DEP_4)
	v_fma_f64 v[6:7], v[44:45], s[16:17], v[4:5]
	v_fma_f64 v[4:5], v[38:39], s[14:15], v[22:23]
	;; [unrolled: 1-line block ×3, first 2 shown]
	s_delay_alu instid0(VALU_DEP_4) | instskip(NEXT) | instid1(VALU_DEP_3)
	v_add_f64 v[12:13], v[12:13], v[16:17]
	v_fma_f64 v[4:5], v[40:41], s[16:17], v[4:5]
	s_delay_alu instid0(VALU_DEP_3) | instskip(NEXT) | instid1(VALU_DEP_2)
	v_add_f64 v[14:15], v[14:15], v[18:19]
	v_add_f64 v[52:53], v[12:13], -v[4:5]
	s_delay_alu instid0(VALU_DEP_2)
	v_add_f64 v[54:55], v[6:7], v[14:15]
	scratch_store_b128 off, v[52:55], off   ; 16-byte Folded Spill
	s_and_saveexec_b32 s18, vcc_lo
	s_cbranch_execz .LBB0_5
; %bb.4:
	v_add_f64 v[42:43], v[48:49], -v[42:43]
	v_add_f64 v[28:29], v[30:31], -v[28:29]
	v_mul_f64 v[30:31], v[46:47], s[12:13]
	v_mul_f64 v[46:47], v[50:51], s[14:15]
	v_add_f64 v[8:9], v[10:11], -v[8:9]
	v_add_f64 v[10:11], v[26:27], -v[24:25]
	v_mul_f64 v[24:25], v[34:35], s[12:13]
	v_mul_f64 v[26:27], v[38:39], s[14:15]
	s_mov_b32 s13, 0xbfebfeb5
	s_mov_b32 s12, s0
	v_mul_f64 v[34:35], v[44:45], s[16:17]
	v_mul_f64 v[38:39], v[40:41], s[16:17]
	v_add_f64 v[6:7], v[14:15], -v[6:7]
	v_add_f64 v[4:5], v[4:5], v[12:13]
	v_fma_f64 v[32:33], v[42:43], s[12:13], -v[32:33]
	v_fma_f64 v[36:37], v[28:29], s[20:21], -v[36:37]
	;; [unrolled: 1-line block ×8, first 2 shown]
	v_add_f64 v[24:25], v[34:35], v[32:33]
	v_add_f64 v[26:27], v[36:37], v[18:19]
	v_add_f64 v[18:19], v[28:29], v[18:19]
	v_add_f64 v[28:29], v[34:35], v[30:31]
	v_add_f64 v[30:31], v[20:21], v[16:17]
	v_add_f64 v[32:33], v[38:39], v[22:23]
	v_add_f64 v[8:9], v[8:9], v[16:17]
	v_add_f64 v[34:35], v[38:39], v[10:11]
	v_add_f64 v[22:23], v[26:27], -v[24:25]
	v_add_f64 v[10:11], v[24:25], v[26:27]
	v_add_f64 v[14:15], v[18:19], -v[28:29]
	v_add_f64 v[18:19], v[28:29], v[18:19]
	v_add_f64 v[20:21], v[32:33], v[30:31]
	v_add_f64 v[16:17], v[8:9], -v[34:35]
	v_add_f64 v[12:13], v[34:35], v[8:9]
	v_add_f64 v[8:9], v[30:31], -v[32:33]
	ds_store_b128 v136, v[0:3] offset:3024
	ds_store_b128 v136, v[4:7] offset:6912
	;; [unrolled: 1-line block ×6, first 2 shown]
	scratch_load_b128 v[0:3], off, off      ; 16-byte Folded Reload
	s_waitcnt vmcnt(0)
	ds_store_b128 v136, v[0:3] offset:26352
.LBB0_5:
	s_or_b32 exec_lo, exec_lo, s18
	v_lshlrev_b32_e32 v0, 4, v154
	s_waitcnt lgkmcnt(0)
	s_waitcnt_vscnt null, 0x0
	s_barrier
	buffer_gl0_inv
	ds_load_b128 v[4:7], v136
	ds_load_b128 v[26:29], v136 offset:1008
	v_add_co_u32 v8, s0, s8, v0
	s_delay_alu instid0(VALU_DEP_1) | instskip(SKIP_3) | instid1(VALU_DEP_1)
	v_add_co_ci_u32_e64 v9, null, s9, 0, s0
	ds_load_b128 v[14:17], v136 offset:9072
	ds_load_b128 v[128:131], v136 offset:8064
	v_add_co_u32 v0, s0, 0x6000, v8
	v_add_co_ci_u32_e64 v1, s0, 0, v9, s0
	ds_load_b128 v[20:23], v136 offset:18144
	ds_load_b128 v[38:41], v136 offset:19152
	;; [unrolled: 1-line block ×4, first 2 shown]
	global_load_b128 v[0:3], v[0:1], off offset:2640
	ds_load_b128 v[44:47], v136 offset:2016
	ds_load_b128 v[62:65], v136 offset:3024
	;; [unrolled: 1-line block ×18, first 2 shown]
	s_mov_b32 s9, 0x3febb67a
	s_waitcnt vmcnt(0) lgkmcnt(25)
	v_mul_f64 v[10:11], v[6:7], v[2:3]
	v_mul_f64 v[12:13], v[4:5], v[2:3]
	s_delay_alu instid0(VALU_DEP_2) | instskip(NEXT) | instid1(VALU_DEP_2)
	v_fma_f64 v[2:3], v[4:5], v[0:1], -v[10:11]
	v_fma_f64 v[4:5], v[6:7], v[0:1], v[12:13]
	v_add_co_u32 v0, s0, 0x8000, v8
	s_delay_alu instid0(VALU_DEP_1) | instskip(SKIP_4) | instid1(VALU_DEP_2)
	v_add_co_ci_u32_e64 v1, s0, 0, v9, s0
	global_load_b128 v[10:13], v[0:1], off offset:3520
	s_waitcnt vmcnt(0) lgkmcnt(23)
	v_mul_f64 v[6:7], v[16:17], v[12:13]
	v_mul_f64 v[18:19], v[14:15], v[12:13]
	v_fma_f64 v[12:13], v[14:15], v[10:11], -v[6:7]
	v_add_co_u32 v6, s0, 0xb000, v8
	s_delay_alu instid0(VALU_DEP_1) | instskip(NEXT) | instid1(VALU_DEP_4)
	v_add_co_ci_u32_e64 v7, s0, 0, v9, s0
	v_fma_f64 v[14:15], v[16:17], v[10:11], v[18:19]
	global_load_b128 v[16:19], v[6:7], off offset:304
	s_waitcnt vmcnt(0) lgkmcnt(21)
	v_mul_f64 v[10:11], v[22:23], v[18:19]
	v_mul_f64 v[24:25], v[20:21], v[18:19]
	s_delay_alu instid0(VALU_DEP_2) | instskip(SKIP_1) | instid1(VALU_DEP_1)
	v_fma_f64 v[18:19], v[20:21], v[16:17], -v[10:11]
	v_add_co_u32 v10, s0, 0x6a50, v8
	v_add_co_ci_u32_e64 v11, s0, 0, v9, s0
	s_delay_alu instid0(VALU_DEP_4) | instskip(SKIP_4) | instid1(VALU_DEP_2)
	v_fma_f64 v[20:21], v[22:23], v[16:17], v[24:25]
	global_load_b128 v[22:25], v[10:11], off offset:1008
	s_waitcnt vmcnt(0)
	v_mul_f64 v[16:17], v[28:29], v[24:25]
	v_mul_f64 v[30:31], v[26:27], v[24:25]
	v_fma_f64 v[24:25], v[26:27], v[22:23], -v[16:17]
	v_add_co_u32 v16, s0, 0x9000, v8
	s_delay_alu instid0(VALU_DEP_1) | instskip(NEXT) | instid1(VALU_DEP_4)
	v_add_co_ci_u32_e64 v17, s0, 0, v9, s0
	v_fma_f64 v[26:27], v[28:29], v[22:23], v[30:31]
	global_load_b128 v[28:31], v[16:17], off offset:432
	s_waitcnt vmcnt(0) lgkmcnt(19)
	v_mul_f64 v[22:23], v[34:35], v[30:31]
	v_mul_f64 v[36:37], v[32:33], v[30:31]
	s_delay_alu instid0(VALU_DEP_2) | instskip(NEXT) | instid1(VALU_DEP_2)
	v_fma_f64 v[30:31], v[32:33], v[28:29], -v[22:23]
	v_fma_f64 v[32:33], v[34:35], v[28:29], v[36:37]
	global_load_b128 v[34:37], v[6:7], off offset:1312
	s_waitcnt vmcnt(0)
	v_mul_f64 v[22:23], v[40:41], v[36:37]
	v_mul_f64 v[28:29], v[38:39], v[36:37]
	s_delay_alu instid0(VALU_DEP_2) | instskip(NEXT) | instid1(VALU_DEP_2)
	v_fma_f64 v[36:37], v[38:39], v[34:35], -v[22:23]
	v_fma_f64 v[38:39], v[40:41], v[34:35], v[28:29]
	global_load_b128 v[40:43], v[10:11], off offset:2016
	s_waitcnt vmcnt(0) lgkmcnt(17)
	v_mul_f64 v[22:23], v[46:47], v[42:43]
	v_mul_f64 v[28:29], v[44:45], v[42:43]
	s_delay_alu instid0(VALU_DEP_2) | instskip(NEXT) | instid1(VALU_DEP_2)
	v_fma_f64 v[42:43], v[44:45], v[40:41], -v[22:23]
	v_fma_f64 v[44:45], v[46:47], v[40:41], v[28:29]
	global_load_b128 v[46:49], v[16:17], off offset:1440
	s_waitcnt vmcnt(0)
	v_mul_f64 v[22:23], v[52:53], v[48:49]
	v_mul_f64 v[28:29], v[50:51], v[48:49]
	s_delay_alu instid0(VALU_DEP_2) | instskip(NEXT) | instid1(VALU_DEP_2)
	v_fma_f64 v[48:49], v[50:51], v[46:47], -v[22:23]
	;; [unrolled: 14-line block ×4, first 2 shown]
	v_fma_f64 v[74:75], v[76:77], v[70:71], v[22:23]
	global_load_b128 v[76:79], v[10:11], off offset:4032
	s_waitcnt vmcnt(0) lgkmcnt(11)
	v_mul_f64 v[6:7], v[82:83], v[78:79]
	v_mul_f64 v[10:11], v[80:81], v[78:79]
	s_delay_alu instid0(VALU_DEP_2) | instskip(NEXT) | instid1(VALU_DEP_2)
	v_fma_f64 v[78:79], v[80:81], v[76:77], -v[6:7]
	v_fma_f64 v[80:81], v[82:83], v[76:77], v[10:11]
	global_load_b128 v[82:85], v[16:17], off offset:3456
	s_waitcnt vmcnt(0)
	v_mul_f64 v[6:7], v[88:89], v[84:85]
	v_mul_f64 v[10:11], v[86:87], v[84:85]
	s_delay_alu instid0(VALU_DEP_2) | instskip(SKIP_1) | instid1(VALU_DEP_1)
	v_fma_f64 v[84:85], v[86:87], v[82:83], -v[6:7]
	v_add_co_u32 v6, s0, 0xc000, v8
	v_add_co_ci_u32_e64 v7, s0, 0, v9, s0
	s_delay_alu instid0(VALU_DEP_4) | instskip(SKIP_4) | instid1(VALU_DEP_2)
	v_fma_f64 v[86:87], v[88:89], v[82:83], v[10:11]
	global_load_b128 v[88:91], v[6:7], off offset:240
	s_waitcnt vmcnt(0) lgkmcnt(9)
	v_mul_f64 v[10:11], v[94:95], v[90:91]
	v_mul_f64 v[16:17], v[92:93], v[90:91]
	v_fma_f64 v[90:91], v[92:93], v[88:89], -v[10:11]
	v_add_co_u32 v10, s0, 0x7000, v8
	s_delay_alu instid0(VALU_DEP_1) | instskip(NEXT) | instid1(VALU_DEP_4)
	v_add_co_ci_u32_e64 v11, s0, 0, v9, s0
	v_fma_f64 v[92:93], v[94:95], v[88:89], v[16:17]
	global_load_b128 v[94:97], v[10:11], off offset:3584
	s_waitcnt vmcnt(0)
	v_mul_f64 v[10:11], v[106:107], v[96:97]
	v_mul_f64 v[16:17], v[104:105], v[96:97]
	s_delay_alu instid0(VALU_DEP_2) | instskip(SKIP_1) | instid1(VALU_DEP_1)
	v_fma_f64 v[96:97], v[104:105], v[94:95], -v[10:11]
	v_add_co_u32 v10, s0, 0xa000, v8
	v_add_co_ci_u32_e64 v11, s0, 0, v9, s0
	s_delay_alu instid0(VALU_DEP_4) | instskip(SKIP_4) | instid1(VALU_DEP_2)
	v_fma_f64 v[98:99], v[106:107], v[94:95], v[16:17]
	global_load_b128 v[104:107], v[10:11], off offset:368
	s_waitcnt vmcnt(0) lgkmcnt(7)
	v_mul_f64 v[16:17], v[238:239], v[106:107]
	v_mul_f64 v[22:23], v[236:237], v[106:107]
	v_fma_f64 v[236:237], v[236:237], v[104:105], -v[16:17]
	s_delay_alu instid0(VALU_DEP_2) | instskip(SKIP_4) | instid1(VALU_DEP_2)
	v_fma_f64 v[238:239], v[238:239], v[104:105], v[22:23]
	global_load_b128 v[104:107], v[6:7], off offset:1248
	s_waitcnt vmcnt(0)
	v_mul_f64 v[16:17], v[242:243], v[106:107]
	v_mul_f64 v[22:23], v[240:241], v[106:107]
	v_fma_f64 v[240:241], v[240:241], v[104:105], -v[16:17]
	s_delay_alu instid0(VALU_DEP_2) | instskip(SKIP_4) | instid1(VALU_DEP_2)
	v_fma_f64 v[242:243], v[242:243], v[104:105], v[22:23]
	global_load_b128 v[104:107], v[0:1], off offset:496
	s_waitcnt vmcnt(0) lgkmcnt(5)
	v_mul_f64 v[16:17], v[246:247], v[106:107]
	v_mul_f64 v[22:23], v[244:245], v[106:107]
	v_fma_f64 v[244:245], v[244:245], v[104:105], -v[16:17]
	s_delay_alu instid0(VALU_DEP_2) | instskip(SKIP_4) | instid1(VALU_DEP_2)
	v_fma_f64 v[246:247], v[246:247], v[104:105], v[22:23]
	global_load_b128 v[104:107], v[10:11], off offset:1376
	s_waitcnt vmcnt(0)
	v_mul_f64 v[16:17], v[250:251], v[106:107]
	v_mul_f64 v[22:23], v[248:249], v[106:107]
	v_fma_f64 v[248:249], v[248:249], v[104:105], -v[16:17]
	s_delay_alu instid0(VALU_DEP_2) | instskip(SKIP_4) | instid1(VALU_DEP_2)
	;; [unrolled: 14-line block ×4, first 2 shown]
	v_fma_f64 v[126:127], v[126:127], v[104:105], v[16:17]
	global_load_b128 v[104:107], v[0:1], off offset:2512
	s_waitcnt vmcnt(0)
	v_mul_f64 v[0:1], v[130:131], v[106:107]
	v_mul_f64 v[6:7], v[128:129], v[106:107]
	v_fma_f64 v[128:129], v[128:129], v[104:105], -v[0:1]
	s_delay_alu instid0(VALU_DEP_2) | instskip(SKIP_4) | instid1(VALU_DEP_2)
	v_fma_f64 v[130:131], v[130:131], v[104:105], v[6:7]
	global_load_b128 v[104:107], v[10:11], off offset:3392
	s_waitcnt vmcnt(0) lgkmcnt(0)
	v_mul_f64 v[0:1], v[102:103], v[106:107]
	v_mul_f64 v[6:7], v[100:101], v[106:107]
	v_fma_f64 v[100:101], v[100:101], v[104:105], -v[0:1]
	v_add_co_u32 v0, s0, 0xd000, v8
	s_delay_alu instid0(VALU_DEP_1) | instskip(NEXT) | instid1(VALU_DEP_4)
	v_add_co_ci_u32_e64 v1, s0, 0, v9, s0
	v_fma_f64 v[102:103], v[102:103], v[104:105], v[6:7]
	ds_load_b128 v[104:107], v136 offset:26208
	s_mov_b32 s0, 0xe8584caa
	global_load_b128 v[6:9], v[0:1], off offset:176
	s_mov_b32 s1, 0xbfebb67a
	s_mov_b32 s8, s0
	s_waitcnt vmcnt(0) lgkmcnt(0)
	v_mul_f64 v[0:1], v[106:107], v[8:9]
	v_mul_f64 v[10:11], v[104:105], v[8:9]
	s_delay_alu instid0(VALU_DEP_2) | instskip(NEXT) | instid1(VALU_DEP_2)
	v_fma_f64 v[8:9], v[104:105], v[6:7], -v[0:1]
	v_fma_f64 v[10:11], v[106:107], v[6:7], v[10:11]
	ds_store_b128 v136, v[2:5]
	ds_store_b128 v136, v[24:27] offset:1008
	ds_store_b128 v136, v[18:21] offset:18144
	;; [unrolled: 1-line block ×26, first 2 shown]
	s_waitcnt lgkmcnt(0)
	s_barrier
	buffer_gl0_inv
	ds_load_b128 v[4:7], v136 offset:9072
	ds_load_b128 v[0:3], v136
	ds_load_b128 v[8:11], v136 offset:18144
	s_waitcnt lgkmcnt(1)
	v_add_f64 v[12:13], v[0:1], v[4:5]
	v_add_f64 v[14:15], v[2:3], v[6:7]
	s_waitcnt lgkmcnt(0)
	v_add_f64 v[76:77], v[4:5], v[8:9]
	v_add_f64 v[78:79], v[6:7], -v[10:11]
	v_add_f64 v[80:81], v[6:7], v[10:11]
	v_add_f64 v[82:83], v[4:5], -v[8:9]
	v_add_f64 v[4:5], v[12:13], v[8:9]
	v_add_f64 v[6:7], v[14:15], v[10:11]
	ds_load_b128 v[8:11], v136 offset:1008
	ds_load_b128 v[12:15], v136 offset:10080
	ds_load_b128 v[16:19], v136 offset:19152
	s_waitcnt lgkmcnt(1)
	v_add_f64 v[20:21], v[8:9], v[12:13]
	v_add_f64 v[22:23], v[10:11], v[14:15]
	s_waitcnt lgkmcnt(0)
	v_add_f64 v[84:85], v[12:13], v[16:17]
	v_add_f64 v[86:87], v[14:15], -v[18:19]
	v_add_f64 v[88:89], v[14:15], v[18:19]
	v_add_f64 v[90:91], v[12:13], -v[16:17]
	v_add_f64 v[12:13], v[20:21], v[16:17]
	v_add_f64 v[14:15], v[22:23], v[18:19]
	ds_load_b128 v[16:19], v136 offset:11088
	ds_load_b128 v[20:23], v136 offset:2016
	;; [unrolled: 13-line block ×8, first 2 shown]
	ds_load_b128 v[72:75], v136 offset:26208
	s_waitcnt lgkmcnt(0)
	s_barrier
	buffer_gl0_inv
	v_add_f64 v[141:142], v[64:65], v[68:69]
	v_add_f64 v[145:146], v[68:69], v[72:73]
	v_add_f64 v[151:152], v[68:69], -v[72:73]
	v_add_f64 v[143:144], v[66:67], v[70:71]
	v_add_f64 v[147:148], v[70:71], -v[74:75]
	v_add_f64 v[149:150], v[70:71], v[74:75]
	v_add_f64 v[68:69], v[141:142], v[72:73]
	v_fma_f64 v[72:73], v[76:77], -0.5, v[0:1]
	scratch_load_b32 v76, off, off offset:832 ; 4-byte Folded Reload
	v_add_f64 v[70:71], v[143:144], v[74:75]
	v_fma_f64 v[74:75], v[80:81], -0.5, v[2:3]
	v_fma_f64 v[0:1], v[78:79], s[0:1], v[72:73]
	v_fma_f64 v[72:73], v[78:79], s[8:9], v[72:73]
	s_delay_alu instid0(VALU_DEP_3)
	v_fma_f64 v[2:3], v[82:83], s[8:9], v[74:75]
	v_fma_f64 v[74:75], v[82:83], s[0:1], v[74:75]
	s_waitcnt vmcnt(0)
	ds_store_b128 v76, v[4:7]
	ds_store_b128 v76, v[0:3] offset:16
	ds_store_b128 v76, v[72:75] offset:32
	v_fma_f64 v[2:3], v[84:85], -0.5, v[8:9]
	scratch_load_b32 v8, off, off offset:828 ; 4-byte Folded Reload
	v_fma_f64 v[6:7], v[88:89], -0.5, v[10:11]
	v_fma_f64 v[0:1], v[86:87], s[0:1], v[2:3]
	v_fma_f64 v[4:5], v[86:87], s[8:9], v[2:3]
	s_delay_alu instid0(VALU_DEP_3)
	v_fma_f64 v[2:3], v[90:91], s[8:9], v[6:7]
	v_fma_f64 v[6:7], v[90:91], s[0:1], v[6:7]
	s_waitcnt vmcnt(0)
	ds_store_b128 v8, v[12:15]
	ds_store_b128 v8, v[0:3] offset:16
	ds_store_b128 v8, v[4:7] offset:32
	scratch_load_b32 v8, off, off offset:800 ; 4-byte Folded Reload
	v_fma_f64 v[2:3], v[92:93], -0.5, v[20:21]
	v_fma_f64 v[6:7], v[96:97], -0.5, v[22:23]
	s_delay_alu instid0(VALU_DEP_2) | instskip(SKIP_1) | instid1(VALU_DEP_3)
	v_fma_f64 v[0:1], v[94:95], s[0:1], v[2:3]
	v_fma_f64 v[4:5], v[94:95], s[8:9], v[2:3]
	v_fma_f64 v[2:3], v[98:99], s[8:9], v[6:7]
	v_fma_f64 v[6:7], v[98:99], s[0:1], v[6:7]
	s_waitcnt vmcnt(0)
	ds_store_b128 v8, v[16:19]
	ds_store_b128 v8, v[0:3] offset:16
	ds_store_b128 v8, v[4:7] offset:32
	scratch_load_b32 v8, off, off offset:776 ; 4-byte Folded Reload
	v_fma_f64 v[2:3], v[100:101], -0.5, v[24:25]
	v_fma_f64 v[6:7], v[104:105], -0.5, v[26:27]
	s_delay_alu instid0(VALU_DEP_2) | instskip(SKIP_1) | instid1(VALU_DEP_3)
	v_fma_f64 v[0:1], v[102:103], s[0:1], v[2:3]
	v_fma_f64 v[4:5], v[102:103], s[8:9], v[2:3]
	;; [unrolled: 12-line block ×7, first 2 shown]
	v_fma_f64 v[2:3], v[151:152], s[8:9], v[6:7]
	v_fma_f64 v[6:7], v[151:152], s[0:1], v[6:7]
	s_waitcnt vmcnt(0)
	ds_store_b128 v8, v[68:71]
	ds_store_b128 v8, v[0:3] offset:16
	ds_store_b128 v8, v[4:7] offset:32
	s_waitcnt lgkmcnt(0)
	s_barrier
	buffer_gl0_inv
	s_clause 0x2
	scratch_load_b128 v[6:9], off, off offset:456
	scratch_load_b128 v[10:13], off, off offset:472
	;; [unrolled: 1-line block ×3, first 2 shown]
	ds_load_b128 v[0:3], v136 offset:9072
	s_waitcnt vmcnt(2) lgkmcnt(0)
	v_mul_f64 v[4:5], v[8:9], v[2:3]
	s_delay_alu instid0(VALU_DEP_1) | instskip(SKIP_1) | instid1(VALU_DEP_1)
	v_fma_f64 v[4:5], v[6:7], v[0:1], v[4:5]
	v_mul_f64 v[0:1], v[8:9], v[0:1]
	v_fma_f64 v[6:7], v[6:7], v[2:3], -v[0:1]
	ds_load_b128 v[0:3], v136 offset:18144
	s_waitcnt vmcnt(1) lgkmcnt(0)
	v_mul_f64 v[8:9], v[12:13], v[2:3]
	s_delay_alu instid0(VALU_DEP_1) | instskip(SKIP_1) | instid1(VALU_DEP_1)
	v_fma_f64 v[8:9], v[10:11], v[0:1], v[8:9]
	v_mul_f64 v[0:1], v[12:13], v[0:1]
	v_fma_f64 v[10:11], v[10:11], v[2:3], -v[0:1]
	;; [unrolled: 7-line block ×3, first 2 shown]
	scratch_load_b128 v[14:17], off, off offset:504 ; 16-byte Folded Reload
	ds_load_b128 v[0:3], v136 offset:19152
	s_waitcnt vmcnt(0) lgkmcnt(0)
	v_mul_f64 v[12:13], v[16:17], v[2:3]
	s_delay_alu instid0(VALU_DEP_1) | instskip(SKIP_1) | instid1(VALU_DEP_1)
	v_fma_f64 v[48:49], v[14:15], v[0:1], v[12:13]
	v_mul_f64 v[0:1], v[16:17], v[0:1]
	v_fma_f64 v[50:51], v[14:15], v[2:3], -v[0:1]
	scratch_load_b128 v[14:17], off, off offset:520 ; 16-byte Folded Reload
	ds_load_b128 v[0:3], v136 offset:11088
	s_waitcnt vmcnt(0) lgkmcnt(0)
	v_mul_f64 v[12:13], v[16:17], v[2:3]
	s_delay_alu instid0(VALU_DEP_1) | instskip(SKIP_1) | instid1(VALU_DEP_1)
	v_fma_f64 v[52:53], v[14:15], v[0:1], v[12:13]
	v_mul_f64 v[0:1], v[16:17], v[0:1]
	v_fma_f64 v[54:55], v[14:15], v[2:3], -v[0:1]
	;; [unrolled: 8-line block ×14, first 2 shown]
	scratch_load_b128 v[14:17], off, off offset:756 ; 16-byte Folded Reload
	ds_load_b128 v[0:3], v136 offset:26208
	s_waitcnt vmcnt(0) lgkmcnt(0)
	v_mul_f64 v[12:13], v[16:17], v[2:3]
	s_delay_alu instid0(VALU_DEP_1) | instskip(SKIP_2) | instid1(VALU_DEP_2)
	v_fma_f64 v[104:105], v[14:15], v[0:1], v[12:13]
	v_mul_f64 v[0:1], v[16:17], v[0:1]
	v_add_f64 v[12:13], v[4:5], v[8:9]
	v_fma_f64 v[106:107], v[14:15], v[2:3], -v[0:1]
	v_add_f64 v[14:15], v[6:7], v[10:11]
	ds_load_b128 v[0:3], v136
	s_waitcnt lgkmcnt(0)
	v_fma_f64 v[12:13], v[12:13], -0.5, v[0:1]
	v_add_f64 v[0:1], v[0:1], v[4:5]
	v_fma_f64 v[14:15], v[14:15], -0.5, v[2:3]
	v_add_f64 v[2:3], v[2:3], v[6:7]
	v_add_f64 v[6:7], v[6:7], -v[10:11]
	s_delay_alu instid0(VALU_DEP_4) | instskip(NEXT) | instid1(VALU_DEP_3)
	v_add_f64 v[0:1], v[0:1], v[8:9]
	v_add_f64 v[2:3], v[2:3], v[10:11]
	v_add_f64 v[10:11], v[4:5], -v[8:9]
	s_delay_alu instid0(VALU_DEP_4) | instskip(SKIP_1) | instid1(VALU_DEP_3)
	v_fma_f64 v[4:5], v[6:7], s[0:1], v[12:13]
	v_fma_f64 v[8:9], v[6:7], s[8:9], v[12:13]
	;; [unrolled: 1-line block ×4, first 2 shown]
	ds_load_b128 v[12:15], v136 offset:8064
	ds_load_b128 v[16:19], v136 offset:1008
	;; [unrolled: 1-line block ×8, first 2 shown]
	s_waitcnt lgkmcnt(0)
	s_barrier
	buffer_gl0_inv
	scratch_load_b32 v108, off, off offset:836 ; 4-byte Folded Reload
	s_waitcnt vmcnt(0)
	ds_store_b128 v108, v[0:3]
	ds_store_b128 v108, v[4:7] offset:48
	ds_store_b128 v108, v[8:11] offset:96
	v_add_f64 v[0:1], v[44:45], v[48:49]
	v_add_f64 v[4:5], v[16:17], v[44:45]
	v_add_f64 v[8:9], v[46:47], -v[50:51]
	s_delay_alu instid0(VALU_DEP_3) | instskip(SKIP_2) | instid1(VALU_DEP_2)
	v_fma_f64 v[6:7], v[0:1], -0.5, v[16:17]
	v_add_f64 v[0:1], v[46:47], v[50:51]
	v_add_f64 v[16:17], v[44:45], -v[48:49]
	v_fma_f64 v[10:11], v[0:1], -0.5, v[18:19]
	v_add_f64 v[0:1], v[18:19], v[46:47]
	s_delay_alu instid0(VALU_DEP_1)
	v_add_f64 v[2:3], v[0:1], v[50:51]
	v_add_f64 v[0:1], v[4:5], v[48:49]
	v_fma_f64 v[4:5], v[8:9], s[0:1], v[6:7]
	v_fma_f64 v[8:9], v[8:9], s[8:9], v[6:7]
	v_fma_f64 v[6:7], v[16:17], s[8:9], v[10:11]
	v_fma_f64 v[10:11], v[16:17], s[0:1], v[10:11]
	scratch_load_b32 v16, off, off offset:824 ; 4-byte Folded Reload
	s_waitcnt vmcnt(0)
	ds_store_b128 v16, v[0:3]
	ds_store_b128 v16, v[4:7] offset:48
	ds_store_b128 v16, v[8:11] offset:96
	v_add_f64 v[0:1], v[52:53], v[56:57]
	v_add_f64 v[4:5], v[20:21], v[52:53]
	v_add_f64 v[8:9], v[54:55], -v[58:59]
	v_add_f64 v[16:17], v[52:53], -v[56:57]
	s_delay_alu instid0(VALU_DEP_4) | instskip(SKIP_1) | instid1(VALU_DEP_1)
	v_fma_f64 v[6:7], v[0:1], -0.5, v[20:21]
	v_add_f64 v[0:1], v[54:55], v[58:59]
	v_fma_f64 v[10:11], v[0:1], -0.5, v[22:23]
	v_add_f64 v[0:1], v[22:23], v[54:55]
	s_delay_alu instid0(VALU_DEP_1)
	v_add_f64 v[2:3], v[0:1], v[58:59]
	v_add_f64 v[0:1], v[4:5], v[56:57]
	v_fma_f64 v[4:5], v[8:9], s[0:1], v[6:7]
	v_fma_f64 v[8:9], v[8:9], s[8:9], v[6:7]
	v_fma_f64 v[6:7], v[16:17], s[8:9], v[10:11]
	v_fma_f64 v[10:11], v[16:17], s[0:1], v[10:11]
	scratch_load_b32 v16, off, off offset:804 ; 4-byte Folded Reload
	s_waitcnt vmcnt(0)
	ds_store_b128 v16, v[0:3]
	ds_store_b128 v16, v[4:7] offset:48
	ds_store_b128 v16, v[8:11] offset:96
	v_add_f64 v[0:1], v[60:61], v[64:65]
	v_add_f64 v[4:5], v[24:25], v[60:61]
	v_add_f64 v[8:9], v[62:63], -v[66:67]
	v_add_f64 v[16:17], v[60:61], -v[64:65]
	s_delay_alu instid0(VALU_DEP_4) | instskip(SKIP_1) | instid1(VALU_DEP_1)
	v_fma_f64 v[6:7], v[0:1], -0.5, v[24:25]
	v_add_f64 v[0:1], v[62:63], v[66:67]
	;; [unrolled: 21-line block ×6, first 2 shown]
	v_fma_f64 v[10:11], v[0:1], -0.5, v[42:43]
	v_add_f64 v[0:1], v[42:43], v[94:95]
	s_delay_alu instid0(VALU_DEP_1)
	v_add_f64 v[2:3], v[0:1], v[98:99]
	v_add_f64 v[0:1], v[4:5], v[96:97]
	v_fma_f64 v[4:5], v[8:9], s[0:1], v[6:7]
	v_fma_f64 v[8:9], v[8:9], s[8:9], v[6:7]
	;; [unrolled: 1-line block ×4, first 2 shown]
	scratch_load_b32 v16, off, off offset:1624 ; 4-byte Folded Reload
	s_waitcnt vmcnt(0)
	ds_store_b128 v16, v[0:3]
	ds_store_b128 v16, v[4:7] offset:48
	ds_store_b128 v16, v[8:11] offset:96
	v_add_f64 v[0:1], v[100:101], v[104:105]
	v_add_f64 v[4:5], v[12:13], v[100:101]
	v_add_f64 v[8:9], v[102:103], -v[106:107]
	s_delay_alu instid0(VALU_DEP_3) | instskip(SKIP_2) | instid1(VALU_DEP_2)
	v_fma_f64 v[6:7], v[0:1], -0.5, v[12:13]
	v_add_f64 v[0:1], v[102:103], v[106:107]
	v_add_f64 v[12:13], v[100:101], -v[104:105]
	v_fma_f64 v[10:11], v[0:1], -0.5, v[14:15]
	v_add_f64 v[0:1], v[14:15], v[102:103]
	s_delay_alu instid0(VALU_DEP_1)
	v_add_f64 v[2:3], v[0:1], v[106:107]
	v_add_f64 v[0:1], v[4:5], v[104:105]
	v_fma_f64 v[4:5], v[8:9], s[0:1], v[6:7]
	v_fma_f64 v[8:9], v[8:9], s[8:9], v[6:7]
	;; [unrolled: 1-line block ×4, first 2 shown]
	scratch_load_b32 v12, off, off offset:1564 ; 4-byte Folded Reload
	s_waitcnt vmcnt(0)
	ds_store_b128 v12, v[0:3]
	ds_store_b128 v12, v[4:7] offset:48
	ds_store_b128 v12, v[8:11] offset:96
	s_waitcnt lgkmcnt(0)
	s_barrier
	buffer_gl0_inv
	s_clause 0x1
	scratch_load_b128 v[6:9], off, off offset:780
	scratch_load_b128 v[42:45], off, off offset:1588
	ds_load_b128 v[0:3], v136 offset:9072
	s_waitcnt vmcnt(1) lgkmcnt(0)
	v_mul_f64 v[4:5], v[8:9], v[2:3]
	s_delay_alu instid0(VALU_DEP_1) | instskip(SKIP_1) | instid1(VALU_DEP_1)
	v_fma_f64 v[38:39], v[6:7], v[0:1], v[4:5]
	v_mul_f64 v[0:1], v[8:9], v[0:1]
	v_fma_f64 v[34:35], v[6:7], v[2:3], -v[0:1]
	scratch_load_b128 v[6:9], off, off offset:808 ; 16-byte Folded Reload
	ds_load_b128 v[0:3], v136 offset:18144
	s_waitcnt vmcnt(0) lgkmcnt(0)
	v_mul_f64 v[4:5], v[8:9], v[2:3]
	s_delay_alu instid0(VALU_DEP_1) | instskip(SKIP_1) | instid1(VALU_DEP_1)
	v_fma_f64 v[40:41], v[6:7], v[0:1], v[4:5]
	v_mul_f64 v[0:1], v[8:9], v[0:1]
	v_fma_f64 v[36:37], v[6:7], v[2:3], -v[0:1]
	scratch_load_b128 v[6:9], off, off offset:840 ; 16-byte Folded Reload
	ds_load_b128 v[0:3], v136 offset:10080
	v_add_f64 v[46:47], v[34:35], -v[36:37]
	s_waitcnt vmcnt(0) lgkmcnt(0)
	v_mul_f64 v[4:5], v[8:9], v[2:3]
	s_delay_alu instid0(VALU_DEP_1) | instskip(SKIP_1) | instid1(VALU_DEP_1)
	v_fma_f64 v[74:75], v[6:7], v[0:1], v[4:5]
	v_mul_f64 v[0:1], v[8:9], v[0:1]
	v_fma_f64 v[76:77], v[6:7], v[2:3], -v[0:1]
	scratch_load_b128 v[6:9], off, off offset:856 ; 16-byte Folded Reload
	ds_load_b128 v[0:3], v136 offset:19152
	s_waitcnt vmcnt(0) lgkmcnt(0)
	v_mul_f64 v[4:5], v[8:9], v[2:3]
	s_delay_alu instid0(VALU_DEP_1) | instskip(SKIP_1) | instid1(VALU_DEP_1)
	v_fma_f64 v[78:79], v[6:7], v[0:1], v[4:5]
	v_mul_f64 v[0:1], v[8:9], v[0:1]
	v_fma_f64 v[80:81], v[6:7], v[2:3], -v[0:1]
	scratch_load_b128 v[6:9], off, off offset:872 ; 16-byte Folded Reload
	ds_load_b128 v[0:3], v136 offset:11088
	;; [unrolled: 8-line block ×14, first 2 shown]
	s_waitcnt vmcnt(0) lgkmcnt(0)
	v_mul_f64 v[4:5], v[8:9], v[2:3]
	s_delay_alu instid0(VALU_DEP_1) | instskip(SKIP_1) | instid1(VALU_DEP_1)
	v_fma_f64 v[4:5], v[6:7], v[0:1], v[4:5]
	v_mul_f64 v[0:1], v[8:9], v[0:1]
	v_fma_f64 v[6:7], v[6:7], v[2:3], -v[0:1]
	ds_load_b128 v[0:3], v136 offset:26208
	s_waitcnt lgkmcnt(0)
	v_mul_f64 v[8:9], v[44:45], v[2:3]
	s_delay_alu instid0(VALU_DEP_1) | instskip(SKIP_2) | instid1(VALU_DEP_2)
	v_fma_f64 v[8:9], v[42:43], v[0:1], v[8:9]
	v_mul_f64 v[0:1], v[44:45], v[0:1]
	v_add_f64 v[44:45], v[34:35], v[36:37]
	v_fma_f64 v[10:11], v[42:43], v[2:3], -v[0:1]
	v_add_f64 v[42:43], v[38:39], v[40:41]
	ds_load_b128 v[0:3], v136
	s_waitcnt lgkmcnt(0)
	v_fma_f64 v[44:45], v[44:45], -0.5, v[2:3]
	v_add_f64 v[2:3], v[2:3], v[34:35]
	v_fma_f64 v[42:43], v[42:43], -0.5, v[0:1]
	v_add_f64 v[0:1], v[0:1], v[38:39]
	s_delay_alu instid0(VALU_DEP_3) | instskip(NEXT) | instid1(VALU_DEP_2)
	v_add_f64 v[36:37], v[2:3], v[36:37]
	v_add_f64 v[34:35], v[0:1], v[40:41]
	v_add_f64 v[0:1], v[38:39], -v[40:41]
	v_fma_f64 v[38:39], v[46:47], s[0:1], v[42:43]
	v_fma_f64 v[42:43], v[46:47], s[8:9], v[42:43]
	s_delay_alu instid0(VALU_DEP_3)
	v_fma_f64 v[40:41], v[0:1], s[8:9], v[44:45]
	v_fma_f64 v[44:45], v[0:1], s[0:1], v[44:45]
	ds_load_b128 v[0:3], v136 offset:8064
	ds_load_b128 v[46:49], v136 offset:1008
	;; [unrolled: 1-line block ×8, first 2 shown]
	s_waitcnt lgkmcnt(0)
	s_barrier
	buffer_gl0_inv
	scratch_load_b32 v108, off, off offset:1740 ; 4-byte Folded Reload
	s_waitcnt vmcnt(0)
	ds_store_b128 v108, v[34:37]
	ds_store_b128 v108, v[38:41] offset:144
	ds_store_b128 v108, v[42:45] offset:288
	v_add_f64 v[34:35], v[74:75], v[78:79]
	v_add_f64 v[38:39], v[46:47], v[74:75]
	v_add_f64 v[42:43], v[76:77], -v[80:81]
	s_delay_alu instid0(VALU_DEP_3) | instskip(SKIP_2) | instid1(VALU_DEP_2)
	v_fma_f64 v[40:41], v[34:35], -0.5, v[46:47]
	v_add_f64 v[34:35], v[76:77], v[80:81]
	v_add_f64 v[46:47], v[74:75], -v[78:79]
	v_fma_f64 v[44:45], v[34:35], -0.5, v[48:49]
	v_add_f64 v[34:35], v[48:49], v[76:77]
	s_delay_alu instid0(VALU_DEP_1)
	v_add_f64 v[36:37], v[34:35], v[80:81]
	v_add_f64 v[34:35], v[38:39], v[78:79]
	v_fma_f64 v[38:39], v[42:43], s[0:1], v[40:41]
	v_fma_f64 v[42:43], v[42:43], s[8:9], v[40:41]
	v_fma_f64 v[40:41], v[46:47], s[8:9], v[44:45]
	v_fma_f64 v[44:45], v[46:47], s[0:1], v[44:45]
	scratch_load_b32 v46, off, off offset:1720 ; 4-byte Folded Reload
	s_waitcnt vmcnt(0)
	ds_store_b128 v46, v[34:37]
	ds_store_b128 v46, v[38:41] offset:144
	ds_store_b128 v46, v[42:45] offset:288
	v_add_f64 v[34:35], v[82:83], v[86:87]
	v_add_f64 v[38:39], v[50:51], v[82:83]
	v_add_f64 v[42:43], v[84:85], -v[88:89]
	v_add_f64 v[46:47], v[82:83], -v[86:87]
	s_delay_alu instid0(VALU_DEP_4) | instskip(SKIP_1) | instid1(VALU_DEP_1)
	v_fma_f64 v[40:41], v[34:35], -0.5, v[50:51]
	v_add_f64 v[34:35], v[84:85], v[88:89]
	v_fma_f64 v[44:45], v[34:35], -0.5, v[52:53]
	v_add_f64 v[34:35], v[52:53], v[84:85]
	s_delay_alu instid0(VALU_DEP_1)
	v_add_f64 v[36:37], v[34:35], v[88:89]
	v_add_f64 v[34:35], v[38:39], v[86:87]
	v_fma_f64 v[38:39], v[42:43], s[0:1], v[40:41]
	v_fma_f64 v[42:43], v[42:43], s[8:9], v[40:41]
	v_fma_f64 v[40:41], v[46:47], s[8:9], v[44:45]
	v_fma_f64 v[44:45], v[46:47], s[0:1], v[44:45]
	scratch_load_b32 v46, off, off offset:1332 ; 4-byte Folded Reload
	s_waitcnt vmcnt(0)
	ds_store_b128 v46, v[34:37]
	ds_store_b128 v46, v[38:41] offset:144
	ds_store_b128 v46, v[42:45] offset:288
	v_add_f64 v[34:35], v[90:91], v[94:95]
	v_add_f64 v[38:39], v[54:55], v[90:91]
	v_add_f64 v[42:43], v[92:93], -v[96:97]
	v_add_f64 v[46:47], v[90:91], -v[94:95]
	s_delay_alu instid0(VALU_DEP_4) | instskip(SKIP_1) | instid1(VALU_DEP_1)
	v_fma_f64 v[40:41], v[34:35], -0.5, v[54:55]
	v_add_f64 v[34:35], v[92:93], v[96:97]
	;; [unrolled: 21-line block ×3, first 2 shown]
	v_fma_f64 v[44:45], v[34:35], -0.5, v[60:61]
	v_add_f64 v[34:35], v[60:61], v[100:101]
	s_delay_alu instid0(VALU_DEP_1)
	v_add_f64 v[36:37], v[34:35], v[104:105]
	v_add_f64 v[34:35], v[38:39], v[102:103]
	v_fma_f64 v[38:39], v[42:43], s[0:1], v[40:41]
	v_fma_f64 v[42:43], v[42:43], s[8:9], v[40:41]
	;; [unrolled: 1-line block ×4, first 2 shown]
	scratch_load_b32 v46, off, off offset:1224 ; 4-byte Folded Reload
	s_waitcnt vmcnt(0)
	ds_store_b128 v46, v[34:37]
	ds_store_b128 v46, v[38:41] offset:144
	ds_store_b128 v46, v[42:45] offset:288
	v_add_f64 v[34:35], v[28:29], v[32:33]
	v_add_f64 v[42:43], v[62:63], v[28:29]
	s_delay_alu instid0(VALU_DEP_2) | instskip(SKIP_1) | instid1(VALU_DEP_1)
	v_fma_f64 v[38:39], v[34:35], -0.5, v[62:63]
	v_add_f64 v[34:35], v[30:31], v[106:107]
	v_fma_f64 v[40:41], v[34:35], -0.5, v[64:65]
	v_add_f64 v[34:35], v[64:65], v[30:31]
	v_add_f64 v[30:31], v[30:31], -v[106:107]
	s_delay_alu instid0(VALU_DEP_2) | instskip(SKIP_2) | instid1(VALU_DEP_4)
	v_add_f64 v[36:37], v[34:35], v[106:107]
	v_add_f64 v[34:35], v[42:43], v[32:33]
	v_add_f64 v[32:33], v[28:29], -v[32:33]
	v_fma_f64 v[28:29], v[30:31], s[0:1], v[38:39]
	v_fma_f64 v[38:39], v[30:31], s[8:9], v[38:39]
	s_delay_alu instid0(VALU_DEP_3)
	v_fma_f64 v[30:31], v[32:33], s[8:9], v[40:41]
	v_fma_f64 v[40:41], v[32:33], s[0:1], v[40:41]
	scratch_load_b32 v32, off, off offset:1172 ; 4-byte Folded Reload
	s_waitcnt vmcnt(0)
	ds_store_b128 v32, v[34:37]
	ds_store_b128 v32, v[28:31] offset:144
	ds_store_b128 v32, v[38:41] offset:288
	v_add_f64 v[28:29], v[20:21], v[24:25]
	v_add_f64 v[34:35], v[66:67], v[20:21]
	s_delay_alu instid0(VALU_DEP_2) | instskip(SKIP_1) | instid1(VALU_DEP_1)
	v_fma_f64 v[30:31], v[28:29], -0.5, v[66:67]
	v_add_f64 v[28:29], v[22:23], v[26:27]
	v_fma_f64 v[32:33], v[28:29], -0.5, v[68:69]
	v_add_f64 v[28:29], v[68:69], v[22:23]
	v_add_f64 v[22:23], v[22:23], -v[26:27]
	s_delay_alu instid0(VALU_DEP_2) | instskip(SKIP_2) | instid1(VALU_DEP_4)
	v_add_f64 v[28:29], v[28:29], v[26:27]
	v_add_f64 v[26:27], v[34:35], v[24:25]
	v_add_f64 v[24:25], v[20:21], -v[24:25]
	v_fma_f64 v[20:21], v[22:23], s[0:1], v[30:31]
	v_fma_f64 v[30:31], v[22:23], s[8:9], v[30:31]
	s_delay_alu instid0(VALU_DEP_3)
	v_fma_f64 v[22:23], v[24:25], s[8:9], v[32:33]
	v_fma_f64 v[32:33], v[24:25], s[0:1], v[32:33]
	;; [unrolled: 22-line block ×3, first 2 shown]
	scratch_load_b32 v16, off, off offset:1004 ; 4-byte Folded Reload
	s_waitcnt vmcnt(0)
	ds_store_b128 v16, v[18:21]
	ds_store_b128 v16, v[12:15] offset:144
	ds_store_b128 v16, v[22:25] offset:288
	v_add_f64 v[12:13], v[4:5], v[8:9]
	v_add_f64 v[14:15], v[6:7], v[10:11]
	s_delay_alu instid0(VALU_DEP_2) | instskip(NEXT) | instid1(VALU_DEP_2)
	v_fma_f64 v[12:13], v[12:13], -0.5, v[0:1]
	v_fma_f64 v[14:15], v[14:15], -0.5, v[2:3]
	v_add_f64 v[2:3], v[2:3], v[6:7]
	v_add_f64 v[0:1], v[0:1], v[4:5]
	v_add_f64 v[6:7], v[6:7], -v[10:11]
	s_delay_alu instid0(VALU_DEP_3) | instskip(NEXT) | instid1(VALU_DEP_3)
	v_add_f64 v[2:3], v[2:3], v[10:11]
	v_add_f64 v[0:1], v[0:1], v[8:9]
	v_add_f64 v[10:11], v[4:5], -v[8:9]
	s_delay_alu instid0(VALU_DEP_4)
	v_fma_f64 v[4:5], v[6:7], s[0:1], v[12:13]
	v_fma_f64 v[8:9], v[6:7], s[8:9], v[12:13]
	scratch_load_b32 v12, off, off offset:968 ; 4-byte Folded Reload
	v_fma_f64 v[6:7], v[10:11], s[8:9], v[14:15]
	v_fma_f64 v[10:11], v[10:11], s[0:1], v[14:15]
	s_waitcnt vmcnt(0)
	ds_store_b128 v12, v[0:3]
	ds_store_b128 v12, v[4:7] offset:144
	ds_store_b128 v12, v[8:11] offset:288
	s_waitcnt lgkmcnt(0)
	s_barrier
	buffer_gl0_inv
	scratch_load_b128 v[6:9], off, off offset:952 ; 16-byte Folded Reload
	ds_load_b128 v[0:3], v136 offset:9072
	ds_load_b128 v[48:51], v136 offset:25200
	s_waitcnt vmcnt(0) lgkmcnt(1)
	v_mul_f64 v[4:5], v[8:9], v[2:3]
	s_delay_alu instid0(VALU_DEP_1) | instskip(SKIP_1) | instid1(VALU_DEP_1)
	v_fma_f64 v[52:53], v[6:7], v[0:1], v[4:5]
	v_mul_f64 v[0:1], v[8:9], v[0:1]
	v_fma_f64 v[54:55], v[6:7], v[2:3], -v[0:1]
	scratch_load_b128 v[6:9], off, off offset:988 ; 16-byte Folded Reload
	ds_load_b128 v[0:3], v136 offset:18144
	s_waitcnt vmcnt(0) lgkmcnt(0)
	v_mul_f64 v[4:5], v[8:9], v[2:3]
	s_delay_alu instid0(VALU_DEP_1) | instskip(SKIP_1) | instid1(VALU_DEP_2)
	v_fma_f64 v[56:57], v[6:7], v[0:1], v[4:5]
	v_mul_f64 v[0:1], v[8:9], v[0:1]
	v_add_f64 v[60:61], v[52:53], v[56:57]
	s_delay_alu instid0(VALU_DEP_2)
	v_fma_f64 v[58:59], v[6:7], v[2:3], -v[0:1]
	scratch_load_b128 v[6:9], off, off offset:1008 ; 16-byte Folded Reload
	ds_load_b128 v[0:3], v136 offset:10080
	v_add_f64 v[62:63], v[54:55], v[58:59]
	s_waitcnt vmcnt(0) lgkmcnt(0)
	v_mul_f64 v[4:5], v[8:9], v[2:3]
	s_delay_alu instid0(VALU_DEP_1) | instskip(SKIP_1) | instid1(VALU_DEP_1)
	v_fma_f64 v[92:93], v[6:7], v[0:1], v[4:5]
	v_mul_f64 v[0:1], v[8:9], v[0:1]
	v_fma_f64 v[94:95], v[6:7], v[2:3], -v[0:1]
	scratch_load_b128 v[6:9], off, off offset:1056 ; 16-byte Folded Reload
	ds_load_b128 v[0:3], v136 offset:19152
	s_waitcnt vmcnt(0) lgkmcnt(0)
	v_mul_f64 v[4:5], v[8:9], v[2:3]
	s_delay_alu instid0(VALU_DEP_1) | instskip(SKIP_1) | instid1(VALU_DEP_1)
	v_fma_f64 v[96:97], v[6:7], v[0:1], v[4:5]
	v_mul_f64 v[0:1], v[8:9], v[0:1]
	v_fma_f64 v[98:99], v[6:7], v[2:3], -v[0:1]
	scratch_load_b128 v[6:9], off, off offset:1076 ; 16-byte Folded Reload
	ds_load_b128 v[0:3], v136 offset:11088
	s_waitcnt vmcnt(0) lgkmcnt(0)
	v_mul_f64 v[4:5], v[8:9], v[2:3]
	s_delay_alu instid0(VALU_DEP_1) | instskip(SKIP_1) | instid1(VALU_DEP_1)
	v_fma_f64 v[40:41], v[6:7], v[0:1], v[4:5]
	v_mul_f64 v[0:1], v[8:9], v[0:1]
	v_fma_f64 v[46:47], v[6:7], v[2:3], -v[0:1]
	scratch_load_b128 v[6:9], off, off offset:1140 ; 16-byte Folded Reload
	ds_load_b128 v[0:3], v136 offset:20160
	s_waitcnt vmcnt(0) lgkmcnt(0)
	v_mul_f64 v[4:5], v[8:9], v[2:3]
	s_delay_alu instid0(VALU_DEP_1) | instskip(SKIP_1) | instid1(VALU_DEP_1)
	v_fma_f64 v[100:101], v[6:7], v[0:1], v[4:5]
	v_mul_f64 v[0:1], v[8:9], v[0:1]
	v_fma_f64 v[102:103], v[6:7], v[2:3], -v[0:1]
	scratch_load_b128 v[6:9], off, off offset:1176 ; 16-byte Folded Reload
	ds_load_b128 v[0:3], v136 offset:12096
	s_waitcnt vmcnt(0) lgkmcnt(0)
	v_mul_f64 v[4:5], v[8:9], v[2:3]
	s_delay_alu instid0(VALU_DEP_1) | instskip(SKIP_1) | instid1(VALU_DEP_1)
	v_fma_f64 v[36:37], v[6:7], v[0:1], v[4:5]
	v_mul_f64 v[0:1], v[8:9], v[0:1]
	v_fma_f64 v[44:45], v[6:7], v[2:3], -v[0:1]
	scratch_load_b128 v[6:9], off, off offset:1208 ; 16-byte Folded Reload
	ds_load_b128 v[0:3], v136 offset:21168
	s_waitcnt vmcnt(0) lgkmcnt(0)
	v_mul_f64 v[4:5], v[8:9], v[2:3]
	s_delay_alu instid0(VALU_DEP_1) | instskip(SKIP_1) | instid1(VALU_DEP_1)
	v_fma_f64 v[104:105], v[6:7], v[0:1], v[4:5]
	v_mul_f64 v[0:1], v[8:9], v[0:1]
	v_fma_f64 v[106:107], v[6:7], v[2:3], -v[0:1]
	scratch_load_b128 v[6:9], off, off offset:1280 ; 16-byte Folded Reload
	ds_load_b128 v[0:3], v136 offset:13104
	s_waitcnt vmcnt(0) lgkmcnt(0)
	v_mul_f64 v[4:5], v[8:9], v[2:3]
	s_delay_alu instid0(VALU_DEP_1) | instskip(SKIP_1) | instid1(VALU_DEP_1)
	v_fma_f64 v[32:33], v[6:7], v[0:1], v[4:5]
	v_mul_f64 v[0:1], v[8:9], v[0:1]
	v_fma_f64 v[34:35], v[6:7], v[2:3], -v[0:1]
	scratch_load_b128 v[6:9], off, off offset:1336 ; 16-byte Folded Reload
	ds_load_b128 v[0:3], v136 offset:22176
	s_waitcnt vmcnt(0) lgkmcnt(0)
	v_mul_f64 v[4:5], v[8:9], v[2:3]
	s_delay_alu instid0(VALU_DEP_1) | instskip(SKIP_1) | instid1(VALU_DEP_1)
	v_fma_f64 v[38:39], v[6:7], v[0:1], v[4:5]
	v_mul_f64 v[0:1], v[8:9], v[0:1]
	v_fma_f64 v[42:43], v[6:7], v[2:3], -v[0:1]
	scratch_load_b128 v[6:9], off, off offset:1420 ; 16-byte Folded Reload
	ds_load_b128 v[0:3], v136 offset:14112
	s_waitcnt vmcnt(0) lgkmcnt(0)
	v_mul_f64 v[4:5], v[8:9], v[2:3]
	s_delay_alu instid0(VALU_DEP_1) | instskip(SKIP_1) | instid1(VALU_DEP_1)
	v_fma_f64 v[24:25], v[6:7], v[0:1], v[4:5]
	v_mul_f64 v[0:1], v[8:9], v[0:1]
	v_fma_f64 v[26:27], v[6:7], v[2:3], -v[0:1]
	scratch_load_b128 v[6:9], off, off offset:1500 ; 16-byte Folded Reload
	ds_load_b128 v[0:3], v136 offset:23184
	s_waitcnt vmcnt(0) lgkmcnt(0)
	v_mul_f64 v[4:5], v[8:9], v[2:3]
	s_delay_alu instid0(VALU_DEP_1) | instskip(SKIP_1) | instid1(VALU_DEP_1)
	v_fma_f64 v[28:29], v[6:7], v[0:1], v[4:5]
	v_mul_f64 v[0:1], v[8:9], v[0:1]
	v_fma_f64 v[30:31], v[6:7], v[2:3], -v[0:1]
	scratch_load_b128 v[6:9], off, off offset:1572 ; 16-byte Folded Reload
	ds_load_b128 v[0:3], v136 offset:15120
	s_waitcnt vmcnt(0) lgkmcnt(0)
	v_mul_f64 v[4:5], v[8:9], v[2:3]
	s_delay_alu instid0(VALU_DEP_1) | instskip(SKIP_1) | instid1(VALU_DEP_1)
	v_fma_f64 v[12:13], v[6:7], v[0:1], v[4:5]
	v_mul_f64 v[0:1], v[8:9], v[0:1]
	v_fma_f64 v[16:17], v[6:7], v[2:3], -v[0:1]
	scratch_load_b128 v[6:9], off, off offset:1628 ; 16-byte Folded Reload
	ds_load_b128 v[0:3], v136 offset:24192
	s_waitcnt vmcnt(0) lgkmcnt(0)
	v_mul_f64 v[4:5], v[8:9], v[2:3]
	s_delay_alu instid0(VALU_DEP_1)
	v_fma_f64 v[18:19], v[6:7], v[0:1], v[4:5]
	v_mul_f64 v[0:1], v[8:9], v[0:1]
	scratch_load_b128 v[8:11], off, off offset:1700 ; 16-byte Folded Reload
	v_fma_f64 v[22:23], v[6:7], v[2:3], -v[0:1]
	ds_load_b128 v[4:7], v136 offset:16128
	s_waitcnt vmcnt(0) lgkmcnt(0)
	v_mul_f64 v[0:1], v[10:11], v[6:7]
	s_delay_alu instid0(VALU_DEP_1) | instskip(SKIP_1) | instid1(VALU_DEP_1)
	v_fma_f64 v[2:3], v[8:9], v[4:5], v[0:1]
	v_mul_f64 v[0:1], v[10:11], v[4:5]
	v_fma_f64 v[6:7], v[8:9], v[6:7], -v[0:1]
	v_mul_f64 v[0:1], v[158:159], v[50:51]
	s_delay_alu instid0(VALU_DEP_1) | instskip(SKIP_1) | instid1(VALU_DEP_1)
	v_fma_f64 v[8:9], v[156:157], v[48:49], v[0:1]
	v_mul_f64 v[0:1], v[158:159], v[48:49]
	v_fma_f64 v[10:11], v[156:157], v[50:51], -v[0:1]
	ds_load_b128 v[48:51], v136 offset:17136
	s_waitcnt lgkmcnt(0)
	v_mul_f64 v[0:1], v[166:167], v[50:51]
	v_mul_f64 v[4:5], v[166:167], v[48:49]
	s_delay_alu instid0(VALU_DEP_2) | instskip(NEXT) | instid1(VALU_DEP_2)
	v_fma_f64 v[0:1], v[164:165], v[48:49], v[0:1]
	v_fma_f64 v[4:5], v[164:165], v[50:51], -v[4:5]
	ds_load_b128 v[48:51], v136 offset:26208
	s_waitcnt lgkmcnt(0)
	v_mul_f64 v[14:15], v[162:163], v[50:51]
	v_mul_f64 v[20:21], v[162:163], v[48:49]
	s_delay_alu instid0(VALU_DEP_2) | instskip(NEXT) | instid1(VALU_DEP_2)
	v_fma_f64 v[14:15], v[160:161], v[48:49], v[14:15]
	v_fma_f64 v[20:21], v[160:161], v[50:51], -v[20:21]
	ds_load_b128 v[48:51], v136
	s_waitcnt lgkmcnt(0)
	v_fma_f64 v[62:63], v[62:63], -0.5, v[50:51]
	v_add_f64 v[50:51], v[50:51], v[54:55]
	v_fma_f64 v[60:61], v[60:61], -0.5, v[48:49]
	v_add_f64 v[48:49], v[48:49], v[52:53]
	v_add_f64 v[54:55], v[54:55], -v[58:59]
	s_delay_alu instid0(VALU_DEP_4) | instskip(SKIP_1) | instid1(VALU_DEP_4)
	v_add_f64 v[50:51], v[50:51], v[58:59]
	v_add_f64 v[58:59], v[52:53], -v[56:57]
	v_add_f64 v[48:49], v[48:49], v[56:57]
	s_delay_alu instid0(VALU_DEP_4) | instskip(SKIP_1) | instid1(VALU_DEP_4)
	v_fma_f64 v[52:53], v[54:55], s[0:1], v[60:61]
	v_fma_f64 v[56:57], v[54:55], s[8:9], v[60:61]
	;; [unrolled: 1-line block ×4, first 2 shown]
	ds_load_b128 v[60:63], v136 offset:8064
	ds_load_b128 v[64:67], v136 offset:1008
	;; [unrolled: 1-line block ×8, first 2 shown]
	s_waitcnt lgkmcnt(0)
	s_barrier
	buffer_gl0_inv
	scratch_load_b32 v108, off, off offset:1664 ; 4-byte Folded Reload
	s_waitcnt vmcnt(0)
	ds_store_b128 v108, v[48:51]
	ds_store_b128 v108, v[52:55] offset:432
	ds_store_b128 v108, v[56:59] offset:864
	v_add_f64 v[48:49], v[92:93], v[96:97]
	v_add_f64 v[52:53], v[64:65], v[92:93]
	v_add_f64 v[56:57], v[94:95], -v[98:99]
	s_delay_alu instid0(VALU_DEP_3) | instskip(SKIP_2) | instid1(VALU_DEP_2)
	v_fma_f64 v[54:55], v[48:49], -0.5, v[64:65]
	v_add_f64 v[48:49], v[94:95], v[98:99]
	v_add_f64 v[64:65], v[92:93], -v[96:97]
	v_fma_f64 v[58:59], v[48:49], -0.5, v[66:67]
	v_add_f64 v[48:49], v[66:67], v[94:95]
	s_delay_alu instid0(VALU_DEP_1)
	v_add_f64 v[50:51], v[48:49], v[98:99]
	v_add_f64 v[48:49], v[52:53], v[96:97]
	v_fma_f64 v[52:53], v[56:57], s[0:1], v[54:55]
	v_fma_f64 v[56:57], v[56:57], s[8:9], v[54:55]
	;; [unrolled: 1-line block ×4, first 2 shown]
	scratch_load_b32 v64, off, off offset:1660 ; 4-byte Folded Reload
	s_waitcnt vmcnt(0)
	ds_store_b128 v64, v[48:51]
	ds_store_b128 v64, v[52:55] offset:432
	ds_store_b128 v64, v[56:59] offset:864
	v_add_f64 v[48:49], v[40:41], v[100:101]
	v_add_f64 v[50:51], v[68:69], v[40:41]
	v_add_f64 v[54:55], v[46:47], -v[102:103]
	v_add_f64 v[40:41], v[40:41], -v[100:101]
	s_delay_alu instid0(VALU_DEP_4) | instskip(SKIP_1) | instid1(VALU_DEP_1)
	v_fma_f64 v[52:53], v[48:49], -0.5, v[68:69]
	v_add_f64 v[48:49], v[46:47], v[102:103]
	v_fma_f64 v[56:57], v[48:49], -0.5, v[70:71]
	v_add_f64 v[48:49], v[70:71], v[46:47]
	v_add_f64 v[46:47], v[50:51], v[100:101]
	v_fma_f64 v[50:51], v[54:55], s[0:1], v[52:53]
	v_fma_f64 v[54:55], v[54:55], s[8:9], v[52:53]
	;; [unrolled: 1-line block ×4, first 2 shown]
	scratch_load_b32 v40, off, off offset:1620 ; 4-byte Folded Reload
	v_add_f64 v[48:49], v[48:49], v[102:103]
	s_waitcnt vmcnt(0)
	ds_store_b128 v40, v[46:49]
	ds_store_b128 v40, v[50:53] offset:432
	ds_store_b128 v40, v[54:57] offset:864
	v_add_f64 v[40:41], v[36:37], v[104:105]
	v_add_f64 v[46:47], v[44:45], v[106:107]
	;; [unrolled: 1-line block ×3, first 2 shown]
	v_add_f64 v[50:51], v[44:45], -v[106:107]
	v_add_f64 v[36:37], v[36:37], -v[104:105]
	v_fma_f64 v[40:41], v[40:41], -0.5, v[72:73]
	v_fma_f64 v[54:55], v[46:47], -0.5, v[74:75]
	v_add_f64 v[46:47], v[74:75], v[44:45]
	v_add_f64 v[44:45], v[48:49], v[104:105]
	s_delay_alu instid0(VALU_DEP_4)
	v_fma_f64 v[48:49], v[50:51], s[0:1], v[40:41]
	v_fma_f64 v[52:53], v[50:51], s[8:9], v[40:41]
	;; [unrolled: 1-line block ×4, first 2 shown]
	scratch_load_b32 v36, off, off offset:1568 ; 4-byte Folded Reload
	v_add_f64 v[46:47], v[46:47], v[106:107]
	s_waitcnt vmcnt(0)
	ds_store_b128 v36, v[44:47]
	ds_store_b128 v36, v[48:51] offset:432
	ds_store_b128 v36, v[52:55] offset:864
	v_add_f64 v[36:37], v[32:33], v[38:39]
	v_add_f64 v[46:47], v[76:77], v[32:33]
	v_add_f64 v[48:49], v[34:35], -v[42:43]
	v_add_f64 v[32:33], v[32:33], -v[38:39]
	s_delay_alu instid0(VALU_DEP_4) | instskip(SKIP_1) | instid1(VALU_DEP_1)
	v_fma_f64 v[40:41], v[36:37], -0.5, v[76:77]
	v_add_f64 v[36:37], v[34:35], v[42:43]
	v_fma_f64 v[44:45], v[36:37], -0.5, v[78:79]
	v_add_f64 v[36:37], v[78:79], v[34:35]
	v_add_f64 v[34:35], v[46:47], v[38:39]
	v_fma_f64 v[38:39], v[48:49], s[0:1], v[40:41]
	s_delay_alu instid0(VALU_DEP_3)
	v_add_f64 v[36:37], v[36:37], v[42:43]
	v_fma_f64 v[42:43], v[48:49], s[8:9], v[40:41]
	v_fma_f64 v[40:41], v[32:33], s[8:9], v[44:45]
	;; [unrolled: 1-line block ×3, first 2 shown]
	scratch_load_b32 v32, off, off offset:1524 ; 4-byte Folded Reload
	s_waitcnt vmcnt(0)
	ds_store_b128 v32, v[34:37]
	ds_store_b128 v32, v[38:41] offset:432
	ds_store_b128 v32, v[42:45] offset:864
	v_add_f64 v[32:33], v[24:25], v[28:29]
	v_add_f64 v[38:39], v[80:81], v[24:25]
	s_delay_alu instid0(VALU_DEP_2) | instskip(SKIP_1) | instid1(VALU_DEP_1)
	v_fma_f64 v[34:35], v[32:33], -0.5, v[80:81]
	v_add_f64 v[32:33], v[26:27], v[30:31]
	v_fma_f64 v[36:37], v[32:33], -0.5, v[82:83]
	v_add_f64 v[32:33], v[82:83], v[26:27]
	v_add_f64 v[26:27], v[26:27], -v[30:31]
	s_delay_alu instid0(VALU_DEP_2) | instskip(SKIP_2) | instid1(VALU_DEP_4)
	v_add_f64 v[32:33], v[32:33], v[30:31]
	v_add_f64 v[30:31], v[38:39], v[28:29]
	v_add_f64 v[28:29], v[24:25], -v[28:29]
	v_fma_f64 v[24:25], v[26:27], s[0:1], v[34:35]
	v_fma_f64 v[34:35], v[26:27], s[8:9], v[34:35]
	s_delay_alu instid0(VALU_DEP_3)
	v_fma_f64 v[26:27], v[28:29], s[8:9], v[36:37]
	v_fma_f64 v[36:37], v[28:29], s[0:1], v[36:37]
	scratch_load_b32 v28, off, off offset:1488 ; 4-byte Folded Reload
	s_waitcnt vmcnt(0)
	ds_store_b128 v28, v[30:33]
	ds_store_b128 v28, v[24:27] offset:432
	ds_store_b128 v28, v[34:37] offset:864
	v_add_f64 v[24:25], v[12:13], v[18:19]
	v_add_f64 v[30:31], v[84:85], v[12:13]
	v_add_f64 v[12:13], v[12:13], -v[18:19]
	v_add_f64 v[32:33], v[16:17], -v[22:23]
	s_delay_alu instid0(VALU_DEP_4) | instskip(SKIP_1) | instid1(VALU_DEP_1)
	v_fma_f64 v[26:27], v[24:25], -0.5, v[84:85]
	v_add_f64 v[24:25], v[16:17], v[22:23]
	v_fma_f64 v[28:29], v[24:25], -0.5, v[86:87]
	v_add_f64 v[24:25], v[86:87], v[16:17]
	s_delay_alu instid0(VALU_DEP_4) | instskip(SKIP_1) | instid1(VALU_DEP_3)
	v_fma_f64 v[16:17], v[32:33], s[0:1], v[26:27]
	v_fma_f64 v[26:27], v[32:33], s[8:9], v[26:27]
	v_add_f64 v[24:25], v[24:25], v[22:23]
	v_add_f64 v[22:23], v[30:31], v[18:19]
	v_fma_f64 v[18:19], v[12:13], s[8:9], v[28:29]
	v_fma_f64 v[28:29], v[12:13], s[0:1], v[28:29]
	scratch_load_b32 v12, off, off offset:1400 ; 4-byte Folded Reload
	s_waitcnt vmcnt(0)
	ds_store_b128 v12, v[22:25]
	ds_store_b128 v12, v[16:19] offset:432
	ds_store_b128 v12, v[26:29] offset:864
	v_add_f64 v[12:13], v[2:3], v[8:9]
	v_add_f64 v[22:23], v[88:89], v[2:3]
	v_add_f64 v[2:3], v[2:3], -v[8:9]
	v_add_f64 v[24:25], v[6:7], -v[10:11]
	;; [unrolled: 1-line block ×3, first 2 shown]
	v_fma_f64 v[16:17], v[12:13], -0.5, v[88:89]
	v_add_f64 v[12:13], v[6:7], v[10:11]
	s_delay_alu instid0(VALU_DEP_1) | instskip(SKIP_1) | instid1(VALU_DEP_4)
	v_fma_f64 v[18:19], v[12:13], -0.5, v[90:91]
	v_add_f64 v[12:13], v[90:91], v[6:7]
	v_fma_f64 v[6:7], v[24:25], s[0:1], v[16:17]
	v_fma_f64 v[16:17], v[24:25], s[8:9], v[16:17]
	v_add_f64 v[24:25], v[60:61], v[0:1]
	s_delay_alu instid0(VALU_DEP_4)
	v_add_f64 v[12:13], v[12:13], v[10:11]
	v_add_f64 v[10:11], v[22:23], v[8:9]
	v_fma_f64 v[8:9], v[2:3], s[8:9], v[18:19]
	v_fma_f64 v[18:19], v[2:3], s[0:1], v[18:19]
	v_add_f64 v[2:3], v[0:1], v[14:15]
	v_add_f64 v[0:1], v[0:1], -v[14:15]
	ds_store_b128 v155, v[10:13]
	ds_store_b128 v155, v[6:9] offset:432
	ds_store_b128 v155, v[16:19] offset:864
	v_fma_f64 v[22:23], v[2:3], -0.5, v[60:61]
	v_add_f64 v[2:3], v[4:5], v[20:21]
	s_delay_alu instid0(VALU_DEP_1) | instskip(SKIP_1) | instid1(VALU_DEP_1)
	v_fma_f64 v[26:27], v[2:3], -0.5, v[62:63]
	v_add_f64 v[2:3], v[62:63], v[4:5]
	v_add_f64 v[4:5], v[2:3], v[20:21]
	;; [unrolled: 1-line block ×3, first 2 shown]
	v_fma_f64 v[20:21], v[28:29], s[0:1], v[22:23]
	v_fma_f64 v[24:25], v[28:29], s[8:9], v[22:23]
	;; [unrolled: 1-line block ×4, first 2 shown]
	scratch_load_b32 v0, off, off offset:1328 ; 4-byte Folded Reload
	s_waitcnt vmcnt(0)
	ds_store_b128 v0, v[2:5]
	ds_store_b128 v0, v[20:23] offset:432
	ds_store_b128 v0, v[24:27] offset:864
	s_waitcnt lgkmcnt(0)
	s_barrier
	buffer_gl0_inv
	ds_load_b128 v[0:3], v136 offset:9072
	ds_load_b128 v[4:7], v136 offset:18144
	s_clause 0x6
	scratch_load_b128 v[26:29], off, off offset:1192
	scratch_load_b128 v[58:61], off, off offset:1228
	;; [unrolled: 1-line block ×7, first 2 shown]
	ds_load_b128 v[8:11], v136 offset:10080
	ds_load_b128 v[12:15], v136 offset:19152
	s_waitcnt vmcnt(6) lgkmcnt(3)
	v_mul_f64 v[16:17], v[28:29], v[2:3]
	v_mul_f64 v[18:19], v[28:29], v[0:1]
	s_waitcnt vmcnt(4) lgkmcnt(2)
	v_mul_f64 v[20:21], v[32:33], v[6:7]
	v_mul_f64 v[22:23], v[32:33], v[4:5]
	s_delay_alu instid0(VALU_DEP_4) | instskip(NEXT) | instid1(VALU_DEP_4)
	v_fma_f64 v[16:17], v[26:27], v[0:1], v[16:17]
	v_fma_f64 v[18:19], v[26:27], v[2:3], -v[18:19]
	ds_load_b128 v[0:3], v136 offset:11088
	s_waitcnt vmcnt(3) lgkmcnt(2)
	v_mul_f64 v[24:25], v[38:39], v[10:11]
	v_mul_f64 v[26:27], v[38:39], v[8:9]
	v_fma_f64 v[20:21], v[30:31], v[4:5], v[20:21]
	v_fma_f64 v[22:23], v[30:31], v[6:7], -v[22:23]
	ds_load_b128 v[4:7], v136 offset:20160
	s_waitcnt vmcnt(2) lgkmcnt(2)
	v_mul_f64 v[28:29], v[42:43], v[14:15]
	v_mul_f64 v[30:31], v[42:43], v[12:13]
	scratch_load_b128 v[42:45], off, off offset:1108 ; 16-byte Folded Reload
	v_fma_f64 v[34:35], v[36:37], v[8:9], v[24:25]
	v_fma_f64 v[36:37], v[36:37], v[10:11], -v[26:27]
	s_waitcnt vmcnt(2) lgkmcnt(0)
	v_mul_f64 v[26:27], v[50:51], v[6:7]
	ds_load_b128 v[8:11], v136 offset:12096
	v_fma_f64 v[38:39], v[40:41], v[12:13], v[28:29]
	v_fma_f64 v[28:29], v[40:41], v[14:15], -v[30:31]
	v_mul_f64 v[30:31], v[50:51], v[4:5]
	scratch_load_b128 v[50:53], off, off offset:1024 ; 16-byte Folded Reload
	ds_load_b128 v[12:15], v136 offset:21168
	v_fma_f64 v[46:47], v[48:49], v[4:5], v[26:27]
	v_fma_f64 v[48:49], v[48:49], v[6:7], -v[30:31]
	ds_load_b128 v[4:7], v136 offset:22176
	s_waitcnt vmcnt(2) lgkmcnt(1)
	v_mul_f64 v[26:27], v[56:57], v[12:13]
	s_waitcnt vmcnt(1)
	v_mul_f64 v[32:33], v[44:45], v[2:3]
	v_mul_f64 v[24:25], v[44:45], v[0:1]
	v_mul_f64 v[44:45], v[56:57], v[14:15]
	s_delay_alu instid0(VALU_DEP_3) | instskip(NEXT) | instid1(VALU_DEP_3)
	v_fma_f64 v[32:33], v[42:43], v[0:1], v[32:33]
	v_fma_f64 v[42:43], v[42:43], v[2:3], -v[24:25]
	ds_load_b128 v[0:3], v136 offset:13104
	s_waitcnt vmcnt(0)
	v_mul_f64 v[40:41], v[52:53], v[10:11]
	v_mul_f64 v[24:25], v[52:53], v[8:9]
	v_fma_f64 v[44:45], v[54:55], v[12:13], v[44:45]
	v_fma_f64 v[54:55], v[54:55], v[14:15], -v[26:27]
	ds_load_b128 v[12:15], v136 offset:23184
	s_waitcnt lgkmcnt(1)
	v_mul_f64 v[30:31], v[60:61], v[2:3]
	v_fma_f64 v[40:41], v[50:51], v[8:9], v[40:41]
	v_fma_f64 v[50:51], v[50:51], v[10:11], -v[24:25]
	v_mul_f64 v[24:25], v[60:61], v[0:1]
	scratch_load_b128 v[60:63], off, off offset:1296 ; 16-byte Folded Reload
	ds_load_b128 v[8:11], v136 offset:14112
	v_fma_f64 v[72:73], v[58:59], v[0:1], v[30:31]
	v_fma_f64 v[74:75], v[58:59], v[2:3], -v[24:25]
	ds_load_b128 v[0:3], v136 offset:15120
	s_waitcnt vmcnt(0)
	v_mul_f64 v[52:53], v[62:63], v[6:7]
	v_mul_f64 v[26:27], v[62:63], v[4:5]
	scratch_load_b128 v[62:65], off, off offset:1384 ; 16-byte Folded Reload
	v_fma_f64 v[76:77], v[60:61], v[4:5], v[52:53]
	v_fma_f64 v[78:79], v[60:61], v[6:7], -v[26:27]
	ds_load_b128 v[4:7], v136 offset:24192
	s_waitcnt vmcnt(0) lgkmcnt(2)
	v_mul_f64 v[56:57], v[64:65], v[10:11]
	v_mul_f64 v[24:25], v[64:65], v[8:9]
	scratch_load_b128 v[64:67], off, off offset:1452 ; 16-byte Folded Reload
	v_fma_f64 v[88:89], v[62:63], v[8:9], v[56:57]
	v_fma_f64 v[84:85], v[62:63], v[10:11], -v[24:25]
	scratch_load_b128 v[60:63], off, off offset:1604 ; 16-byte Folded Reload
	ds_load_b128 v[8:11], v136 offset:16128
	s_waitcnt vmcnt(1)
	v_mul_f64 v[30:31], v[66:67], v[14:15]
	v_mul_f64 v[26:27], v[66:67], v[12:13]
	scratch_load_b128 v[66:69], off, off offset:1544 ; 16-byte Folded Reload
	s_waitcnt vmcnt(1) lgkmcnt(1)
	v_mul_f64 v[56:57], v[62:63], v[6:7]
	v_fma_f64 v[90:91], v[64:65], v[12:13], v[30:31]
	v_fma_f64 v[86:87], v[64:65], v[14:15], -v[26:27]
	v_mul_f64 v[26:27], v[62:63], v[4:5]
	scratch_load_b128 v[62:65], off, off offset:1644 ; 16-byte Folded Reload
	v_fma_f64 v[102:103], v[60:61], v[4:5], v[56:57]
	v_add_f64 v[56:57], v[16:17], v[20:21]
	v_fma_f64 v[98:99], v[60:61], v[6:7], -v[26:27]
	v_add_f64 v[60:61], v[32:33], v[46:47]
	s_waitcnt vmcnt(1)
	v_mul_f64 v[52:53], v[68:69], v[2:3]
	v_mul_f64 v[24:25], v[68:69], v[0:1]
	s_delay_alu instid0(VALU_DEP_2) | instskip(NEXT) | instid1(VALU_DEP_2)
	v_fma_f64 v[100:101], v[66:67], v[0:1], v[52:53]
	v_fma_f64 v[96:97], v[66:67], v[2:3], -v[24:25]
	s_waitcnt vmcnt(0) lgkmcnt(0)
	v_mul_f64 v[30:31], v[64:65], v[10:11]
	v_mul_f64 v[58:59], v[64:65], v[8:9]
	ds_load_b128 v[0:3], v136 offset:25200
	ds_load_b128 v[12:15], v136 offset:17136
	s_clause 0x1
	scratch_load_b128 v[64:67], off, off offset:1668
	scratch_load_b128 v[80:83], off, off offset:1724
	ds_load_b128 v[4:7], v136 offset:26208
	v_fma_f64 v[108:109], v[62:63], v[8:9], v[30:31]
	v_fma_f64 v[110:111], v[62:63], v[10:11], -v[58:59]
	v_add_f64 v[58:59], v[36:37], v[28:29]
	s_waitcnt vmcnt(1) lgkmcnt(2)
	v_mul_f64 v[24:25], v[66:67], v[2:3]
	v_mul_f64 v[26:27], v[66:67], v[0:1]
	scratch_load_b128 v[66:69], off, off offset:1684 ; 16-byte Folded Reload
	s_waitcnt vmcnt(1) lgkmcnt(1)
	v_mul_f64 v[8:9], v[82:83], v[12:13]
	v_mul_f64 v[52:53], v[82:83], v[14:15]
	v_add_f64 v[82:83], v[72:73], v[76:77]
	v_fma_f64 v[112:113], v[64:65], v[0:1], v[24:25]
	v_fma_f64 v[114:115], v[64:65], v[2:3], -v[26:27]
	ds_load_b128 v[0:3], v136
	v_add_f64 v[26:27], v[34:35], v[38:39]
	v_add_f64 v[24:25], v[18:19], v[22:23]
	v_fma_f64 v[118:119], v[80:81], v[14:15], -v[8:9]
	v_fma_f64 v[116:117], v[80:81], v[12:13], v[52:53]
	v_add_f64 v[12:13], v[42:43], v[48:49]
	v_add_f64 v[80:81], v[40:41], -v[44:45]
	s_waitcnt lgkmcnt(0)
	v_add_f64 v[14:15], v[0:1], v[16:17]
	v_fma_f64 v[52:53], v[56:57], -0.5, v[0:1]
	v_fma_f64 v[56:57], v[24:25], -0.5, v[2:3]
	v_add_f64 v[24:25], v[2:3], v[18:19]
	v_add_f64 v[18:19], v[18:19], -v[22:23]
	s_waitcnt vmcnt(0)
	v_mul_f64 v[10:11], v[68:69], v[6:7]
	v_mul_f64 v[30:31], v[68:69], v[4:5]
	v_add_f64 v[68:69], v[50:51], -v[54:55]
	s_delay_alu instid0(VALU_DEP_3) | instskip(NEXT) | instid1(VALU_DEP_3)
	v_fma_f64 v[120:121], v[66:67], v[4:5], v[10:11]
	v_fma_f64 v[122:123], v[66:67], v[6:7], -v[30:31]
	ds_load_b128 v[4:7], v136 offset:1008
	ds_load_b128 v[8:11], v136 offset:2016
	;; [unrolled: 1-line block ×3, first 2 shown]
	s_waitcnt lgkmcnt(2)
	v_add_f64 v[62:63], v[4:5], v[34:35]
	v_fma_f64 v[4:5], v[26:27], -0.5, v[4:5]
	v_add_f64 v[26:27], v[40:41], v[44:45]
	v_fma_f64 v[58:59], v[58:59], -0.5, v[6:7]
	v_add_f64 v[6:7], v[6:7], v[36:37]
	s_waitcnt lgkmcnt(1)
	v_fma_f64 v[12:13], v[12:13], -0.5, v[10:11]
	v_add_f64 v[10:11], v[10:11], v[42:43]
	v_add_f64 v[64:65], v[8:9], v[32:33]
	v_fma_f64 v[8:9], v[60:61], -0.5, v[8:9]
	s_waitcnt lgkmcnt(0)
	v_fma_f64 v[66:67], v[26:27], -0.5, v[0:1]
	v_add_f64 v[26:27], v[50:51], v[54:55]
	v_add_f64 v[0:1], v[0:1], v[40:41]
	;; [unrolled: 1-line block ×3, first 2 shown]
	v_add_f64 v[6:7], v[34:35], -v[38:39]
	v_add_f64 v[34:35], v[10:11], v[48:49]
	v_add_f64 v[10:11], v[74:75], v[78:79]
	v_fma_f64 v[40:41], v[18:19], s[0:1], v[52:53]
	v_fma_f64 v[70:71], v[26:27], -0.5, v[2:3]
	v_add_f64 v[2:3], v[2:3], v[50:51]
	v_add_f64 v[26:27], v[24:25], v[22:23]
	;; [unrolled: 1-line block ×3, first 2 shown]
	v_add_f64 v[14:15], v[16:17], -v[20:21]
	v_add_f64 v[16:17], v[36:37], -v[28:29]
	;; [unrolled: 1-line block ×3, first 2 shown]
	v_add_f64 v[28:29], v[62:63], v[38:39]
	v_add_f64 v[36:37], v[0:1], v[44:45]
	v_add_f64 v[22:23], v[32:33], -v[46:47]
	v_add_f64 v[32:33], v[64:65], v[46:47]
	v_fma_f64 v[44:45], v[18:19], s[8:9], v[52:53]
	v_fma_f64 v[50:51], v[6:7], s[8:9], v[58:59]
	;; [unrolled: 1-line block ×5, first 2 shown]
	v_add_f64 v[38:39], v[2:3], v[54:55]
	ds_load_b128 v[0:3], v136 offset:4032
	v_fma_f64 v[54:55], v[6:7], s[0:1], v[58:59]
	v_fma_f64 v[42:43], v[14:15], s[8:9], v[56:57]
	;; [unrolled: 1-line block ×7, first 2 shown]
	v_add_f64 v[8:9], v[74:75], -v[78:79]
	v_fma_f64 v[58:59], v[22:23], s[8:9], v[12:13]
	v_fma_f64 v[62:63], v[22:23], s[0:1], v[12:13]
	v_add_f64 v[12:13], v[88:89], v[90:91]
	v_fma_f64 v[70:71], v[80:81], s[0:1], v[70:71]
	v_add_f64 v[16:17], v[116:117], v[120:121]
	v_add_f64 v[20:21], v[118:119], -v[122:123]
	s_waitcnt lgkmcnt(0)
	v_add_f64 v[4:5], v[0:1], v[72:73]
	v_fma_f64 v[0:1], v[82:83], -0.5, v[0:1]
	v_fma_f64 v[6:7], v[10:11], -0.5, v[2:3]
	v_add_f64 v[2:3], v[2:3], v[74:75]
	v_add_f64 v[10:11], v[72:73], -v[76:77]
	v_add_f64 v[72:73], v[4:5], v[76:77]
	v_fma_f64 v[76:77], v[8:9], s[0:1], v[0:1]
	v_fma_f64 v[80:81], v[8:9], s[8:9], v[0:1]
	v_add_f64 v[74:75], v[2:3], v[78:79]
	ds_load_b128 v[0:3], v136 offset:5040
	v_fma_f64 v[78:79], v[10:11], s[8:9], v[6:7]
	v_fma_f64 v[82:83], v[10:11], s[0:1], v[6:7]
	v_add_f64 v[6:7], v[84:85], v[86:87]
	v_add_f64 v[8:9], v[84:85], -v[86:87]
	s_waitcnt lgkmcnt(0)
	v_fma_f64 v[4:5], v[12:13], -0.5, v[0:1]
	v_add_f64 v[0:1], v[0:1], v[88:89]
	v_add_f64 v[12:13], v[108:109], -v[112:113]
	v_fma_f64 v[6:7], v[6:7], -0.5, v[2:3]
	v_add_f64 v[2:3], v[2:3], v[84:85]
	v_fma_f64 v[92:93], v[8:9], s[8:9], v[4:5]
	v_add_f64 v[84:85], v[0:1], v[90:91]
	v_add_f64 v[0:1], v[88:89], -v[90:91]
	v_fma_f64 v[88:89], v[8:9], s[0:1], v[4:5]
	v_add_f64 v[4:5], v[100:101], v[102:103]
	v_add_f64 v[8:9], v[96:97], -v[98:99]
	v_add_f64 v[86:87], v[2:3], v[86:87]
	v_fma_f64 v[90:91], v[0:1], s[8:9], v[6:7]
	v_fma_f64 v[94:95], v[0:1], s[0:1], v[6:7]
	ds_load_b128 v[0:3], v136 offset:6048
	v_add_f64 v[6:7], v[96:97], v[98:99]
	s_waitcnt lgkmcnt(0)
	v_fma_f64 v[4:5], v[4:5], -0.5, v[0:1]
	v_add_f64 v[0:1], v[0:1], v[100:101]
	s_delay_alu instid0(VALU_DEP_3) | instskip(SKIP_1) | instid1(VALU_DEP_4)
	v_fma_f64 v[6:7], v[6:7], -0.5, v[2:3]
	v_add_f64 v[2:3], v[2:3], v[96:97]
	v_fma_f64 v[104:105], v[8:9], s[8:9], v[4:5]
	s_delay_alu instid0(VALU_DEP_4)
	v_add_f64 v[96:97], v[0:1], v[102:103]
	v_add_f64 v[0:1], v[100:101], -v[102:103]
	v_fma_f64 v[100:101], v[8:9], s[0:1], v[4:5]
	v_add_f64 v[4:5], v[108:109], v[112:113]
	v_add_f64 v[8:9], v[110:111], -v[114:115]
	v_add_f64 v[98:99], v[2:3], v[98:99]
	v_fma_f64 v[102:103], v[0:1], s[8:9], v[6:7]
	v_fma_f64 v[106:107], v[0:1], s[0:1], v[6:7]
	ds_load_b128 v[0:3], v136 offset:7056
	s_waitcnt lgkmcnt(0)
	v_fma_f64 v[6:7], v[4:5], -0.5, v[0:1]
	v_add_f64 v[4:5], v[110:111], v[114:115]
	v_add_f64 v[0:1], v[0:1], v[108:109]
	v_add_f64 v[108:109], v[116:117], -v[120:121]
	s_delay_alu instid0(VALU_DEP_3)
	v_fma_f64 v[10:11], v[4:5], -0.5, v[2:3]
	v_fma_f64 v[4:5], v[8:9], s[0:1], v[6:7]
	v_fma_f64 v[8:9], v[8:9], s[8:9], v[6:7]
	v_add_f64 v[2:3], v[2:3], v[110:111]
	v_add_f64 v[0:1], v[0:1], v[112:113]
	v_fma_f64 v[6:7], v[12:13], s[8:9], v[10:11]
	v_fma_f64 v[10:11], v[12:13], s[0:1], v[10:11]
	ds_load_b128 v[12:15], v136 offset:8064
	s_waitcnt lgkmcnt(0)
	s_barrier
	buffer_gl0_inv
	ds_store_b128 v136, v[24:27]
	ds_store_b128 v136, v[40:43] offset:1296
	ds_store_b128 v136, v[44:47] offset:2592
	scratch_load_b32 v24, off, off offset:1484 ; 4-byte Folded Reload
	s_waitcnt vmcnt(0)
	ds_store_b128 v24, v[28:31]
	ds_store_b128 v24, v[48:51] offset:1296
	ds_store_b128 v24, v[52:55] offset:2592
	scratch_load_b32 v24, off, off offset:1492 ; 4-byte Folded Reload
	s_waitcnt vmcnt(0)
	;; [unrolled: 5-line block ×4, first 2 shown]
	ds_store_b128 v24, v[72:75] offset:11664
	ds_store_b128 v24, v[76:79] offset:12960
	ds_store_b128 v24, v[80:83] offset:14256
	scratch_load_b32 v24, off, off offset:1520 ; 4-byte Folded Reload
	s_waitcnt vmcnt(0)
	ds_store_b128 v24, v[84:87]
	ds_store_b128 v24, v[88:91] offset:1296
	ds_store_b128 v24, v[92:95] offset:2592
	scratch_load_b32 v24, off, off offset:1560 ; 4-byte Folded Reload
	s_waitcnt vmcnt(0)
	ds_store_b128 v24, v[96:99]
	ds_store_b128 v24, v[100:103] offset:1296
	ds_store_b128 v24, v[104:107] offset:2592
	scratch_load_b32 v24, off, off offset:1744 ; 4-byte Folded Reload
	v_add_f64 v[2:3], v[2:3], v[114:115]
	s_waitcnt vmcnt(0)
	ds_store_b128 v24, v[0:3]
	ds_store_b128 v24, v[4:7] offset:1296
	ds_store_b128 v24, v[8:11] offset:2592
	scratch_load_b32 v24, off, off offset:1716 ; 4-byte Folded Reload
	v_fma_f64 v[18:19], v[16:17], -0.5, v[12:13]
	v_add_f64 v[16:17], v[118:119], v[122:123]
	v_add_f64 v[12:13], v[12:13], v[116:117]
	s_delay_alu instid0(VALU_DEP_2) | instskip(SKIP_1) | instid1(VALU_DEP_3)
	v_fma_f64 v[22:23], v[16:17], -0.5, v[14:15]
	v_add_f64 v[14:15], v[14:15], v[118:119]
	v_add_f64 v[12:13], v[12:13], v[120:121]
	v_fma_f64 v[16:17], v[20:21], s[0:1], v[18:19]
	v_fma_f64 v[20:21], v[20:21], s[8:9], v[18:19]
	;; [unrolled: 1-line block ×3, first 2 shown]
	v_add_f64 v[14:15], v[14:15], v[122:123]
	v_fma_f64 v[22:23], v[108:109], s[0:1], v[22:23]
	s_waitcnt vmcnt(0)
	ds_store_b128 v24, v[12:15] offset:23328
	ds_store_b128 v24, v[16:19] offset:24624
	;; [unrolled: 1-line block ×3, first 2 shown]
	s_waitcnt lgkmcnt(0)
	s_barrier
	buffer_gl0_inv
	ds_load_b128 v[28:31], v136
	ds_load_b128 v[32:35], v136 offset:1008
	ds_load_b128 v[96:99], v136 offset:7776
	;; [unrolled: 1-line block ×20, first 2 shown]
	s_and_saveexec_b32 s0, vcc_lo
	s_cbranch_execz .LBB0_7
; %bb.6:
	ds_load_b128 v[0:3], v136 offset:3024
	ds_load_b128 v[4:7], v136 offset:6912
	;; [unrolled: 1-line block ×7, first 2 shown]
	s_waitcnt lgkmcnt(0)
	scratch_store_b128 off, v[104:107], off ; 16-byte Folded Spill
.LBB0_7:
	s_or_b32 exec_lo, exec_lo, s0
	scratch_load_b128 v[112:115], off, off offset:1468 ; 16-byte Folded Reload
	s_waitcnt lgkmcnt(4)
	v_mul_f64 v[106:107], v[186:187], v[108:109]
	s_waitcnt lgkmcnt(3)
	v_mul_f64 v[116:117], v[170:171], v[38:39]
	v_mul_f64 v[118:119], v[170:171], v[36:37]
	s_mov_b32 s8, 0x37e14327
	s_mov_b32 s0, 0x36b3c0b5
	;; [unrolled: 1-line block ×18, first 2 shown]
	s_delay_alu instid0(VALU_DEP_3) | instskip(NEXT) | instid1(VALU_DEP_3)
	v_fma_f64 v[106:107], v[184:185], v[110:111], -v[106:107]
	v_fma_f64 v[36:37], v[168:169], v[36:37], v[116:117]
	s_delay_alu instid0(VALU_DEP_3) | instskip(SKIP_2) | instid1(VALU_DEP_1)
	v_fma_f64 v[38:39], v[168:169], v[38:39], -v[118:119]
	s_waitcnt vmcnt(0)
	v_mul_f64 v[104:105], v[114:115], v[102:103]
	v_fma_f64 v[104:105], v[112:113], v[100:101], v[104:105]
	v_mul_f64 v[100:101], v[114:115], v[100:101]
	v_mul_f64 v[114:115], v[198:199], v[44:45]
	s_delay_alu instid0(VALU_DEP_2) | instskip(SKIP_2) | instid1(VALU_DEP_4)
	v_fma_f64 v[100:101], v[112:113], v[102:103], -v[100:101]
	v_mul_f64 v[102:103], v[182:183], v[98:99]
	v_mul_f64 v[112:113], v[198:199], v[46:47]
	v_fma_f64 v[46:47], v[196:197], v[46:47], -v[114:115]
	s_delay_alu instid0(VALU_DEP_3) | instskip(SKIP_1) | instid1(VALU_DEP_4)
	v_fma_f64 v[102:103], v[180:181], v[96:97], v[102:103]
	v_mul_f64 v[96:97], v[182:183], v[96:97]
	v_fma_f64 v[44:45], v[196:197], v[44:45], v[112:113]
	s_delay_alu instid0(VALU_DEP_2) | instskip(SKIP_2) | instid1(VALU_DEP_3)
	v_fma_f64 v[96:97], v[180:181], v[98:99], -v[96:97]
	v_mul_f64 v[98:99], v[186:187], v[110:111]
	v_mul_f64 v[110:111], v[194:195], v[52:53]
	v_add_f64 v[114:115], v[96:97], v[106:107]
	s_delay_alu instid0(VALU_DEP_3) | instskip(SKIP_2) | instid1(VALU_DEP_3)
	v_fma_f64 v[98:99], v[184:185], v[108:109], v[98:99]
	v_mul_f64 v[108:109], v[190:191], v[90:91]
	v_add_f64 v[96:97], v[96:97], -v[106:107]
	v_add_f64 v[112:113], v[102:103], v[98:99]
	s_delay_alu instid0(VALU_DEP_3) | instskip(SKIP_2) | instid1(VALU_DEP_2)
	v_fma_f64 v[108:109], v[188:189], v[88:89], v[108:109]
	v_mul_f64 v[88:89], v[190:191], v[88:89]
	v_add_f64 v[98:99], v[102:103], -v[98:99]
	v_fma_f64 v[88:89], v[188:189], v[90:91], -v[88:89]
	v_mul_f64 v[90:91], v[210:211], v[94:95]
	s_delay_alu instid0(VALU_DEP_1) | instskip(SKIP_1) | instid1(VALU_DEP_1)
	v_fma_f64 v[90:91], v[208:209], v[92:93], v[90:91]
	v_mul_f64 v[92:93], v[210:211], v[92:93]
	v_fma_f64 v[92:93], v[208:209], v[94:95], -v[92:93]
	v_mul_f64 v[94:95], v[218:219], v[78:79]
	s_delay_alu instid0(VALU_DEP_1) | instskip(SKIP_1) | instid1(VALU_DEP_1)
	v_fma_f64 v[94:95], v[216:217], v[76:77], v[94:95]
	v_mul_f64 v[76:77], v[218:219], v[76:77]
	v_fma_f64 v[76:77], v[216:217], v[78:79], -v[76:77]
	v_mul_f64 v[78:79], v[230:231], v[82:83]
	s_delay_alu instid0(VALU_DEP_1) | instskip(SKIP_1) | instid1(VALU_DEP_2)
	v_fma_f64 v[78:79], v[228:229], v[80:81], v[78:79]
	v_mul_f64 v[80:81], v[230:231], v[80:81]
	v_add_f64 v[116:117], v[90:91], v[78:79]
	s_delay_alu instid0(VALU_DEP_2) | instskip(SKIP_2) | instid1(VALU_DEP_2)
	v_fma_f64 v[80:81], v[228:229], v[82:83], -v[80:81]
	s_waitcnt lgkmcnt(2)
	v_mul_f64 v[82:83], v[206:207], v[86:87]
	v_add_f64 v[120:121], v[92:93], v[80:81]
	s_delay_alu instid0(VALU_DEP_2) | instskip(SKIP_1) | instid1(VALU_DEP_2)
	v_fma_f64 v[82:83], v[204:205], v[84:85], v[82:83]
	v_mul_f64 v[84:85], v[206:207], v[84:85]
	v_add_f64 v[118:119], v[94:95], v[82:83]
	s_delay_alu instid0(VALU_DEP_2) | instskip(SKIP_2) | instid1(VALU_DEP_3)
	v_fma_f64 v[84:85], v[204:205], v[86:87], -v[84:85]
	v_mul_f64 v[86:87], v[222:223], v[70:71]
	v_add_f64 v[82:83], v[94:95], -v[82:83]
	v_add_f64 v[122:123], v[76:77], v[84:85]
	s_delay_alu instid0(VALU_DEP_3) | instskip(SKIP_2) | instid1(VALU_DEP_4)
	v_fma_f64 v[86:87], v[220:221], v[68:69], v[86:87]
	v_mul_f64 v[68:69], v[222:223], v[68:69]
	v_add_f64 v[76:77], v[76:77], -v[84:85]
	v_add_f64 v[94:95], v[122:123], v[120:121]
	s_delay_alu instid0(VALU_DEP_3) | instskip(SKIP_1) | instid1(VALU_DEP_1)
	v_fma_f64 v[68:69], v[220:221], v[70:71], -v[68:69]
	v_mul_f64 v[70:71], v[226:227], v[66:67]
	v_fma_f64 v[70:71], v[224:225], v[64:65], v[70:71]
	v_mul_f64 v[64:65], v[226:227], v[64:65]
	s_delay_alu instid0(VALU_DEP_1) | instskip(SKIP_2) | instid1(VALU_DEP_1)
	v_fma_f64 v[64:65], v[224:225], v[66:67], -v[64:65]
	s_waitcnt lgkmcnt(0)
	v_mul_f64 v[66:67], v[234:235], v[74:75]
	v_fma_f64 v[66:67], v[232:233], v[72:73], v[66:67]
	v_mul_f64 v[72:73], v[234:235], v[72:73]
	s_delay_alu instid0(VALU_DEP_2) | instskip(NEXT) | instid1(VALU_DEP_2)
	v_add_f64 v[124:125], v[86:87], v[66:67]
	v_fma_f64 v[72:73], v[232:233], v[74:75], -v[72:73]
	v_mul_f64 v[74:75], v[214:215], v[62:63]
	v_add_f64 v[66:67], v[86:87], -v[66:67]
	s_delay_alu instid0(VALU_DEP_3) | instskip(NEXT) | instid1(VALU_DEP_3)
	v_add_f64 v[126:127], v[68:69], v[72:73]
	v_fma_f64 v[74:75], v[212:213], v[60:61], v[74:75]
	v_mul_f64 v[60:61], v[214:215], v[60:61]
	v_add_f64 v[68:69], v[68:69], -v[72:73]
	s_delay_alu instid0(VALU_DEP_3) | instskip(NEXT) | instid1(VALU_DEP_3)
	v_add_f64 v[128:129], v[70:71], v[74:75]
	v_fma_f64 v[60:61], v[212:213], v[62:63], -v[60:61]
	v_mul_f64 v[62:63], v[178:179], v[58:59]
	v_add_f64 v[70:71], v[70:71], -v[74:75]
	s_delay_alu instid0(VALU_DEP_3) | instskip(NEXT) | instid1(VALU_DEP_3)
	v_add_f64 v[130:131], v[64:65], v[60:61]
	v_fma_f64 v[62:63], v[176:177], v[56:57], v[62:63]
	v_mul_f64 v[56:57], v[178:179], v[56:57]
	v_add_f64 v[60:61], v[64:65], -v[60:61]
	s_delay_alu instid0(VALU_DEP_2) | instskip(SKIP_3) | instid1(VALU_DEP_3)
	v_fma_f64 v[56:57], v[176:177], v[58:59], -v[56:57]
	v_mul_f64 v[58:59], v[194:195], v[54:55]
	v_fma_f64 v[54:55], v[192:193], v[54:55], -v[110:111]
	v_mul_f64 v[110:111], v[202:203], v[48:49]
	v_fma_f64 v[52:53], v[192:193], v[52:53], v[58:59]
	v_mul_f64 v[58:59], v[202:203], v[50:51]
	s_delay_alu instid0(VALU_DEP_3)
	v_fma_f64 v[50:51], v[200:201], v[50:51], -v[110:111]
	v_mul_f64 v[110:111], v[174:175], v[40:41]
	v_add_f64 v[106:107], v[56:57], v[54:55]
	v_add_f64 v[54:55], v[54:55], -v[56:57]
	v_add_f64 v[56:57], v[104:105], -v[108:109]
	v_add_f64 v[102:103], v[62:63], v[52:53]
	v_fma_f64 v[48:49], v[200:201], v[48:49], v[58:59]
	v_mul_f64 v[58:59], v[174:175], v[42:43]
	v_fma_f64 v[42:43], v[172:173], v[42:43], -v[110:111]
	v_add_f64 v[110:111], v[100:101], v[88:89]
	v_add_f64 v[52:53], v[52:53], -v[62:63]
	v_add_f64 v[62:63], v[100:101], -v[88:89]
	v_add_f64 v[100:101], v[50:51], v[46:47]
	v_add_f64 v[46:47], v[46:47], -v[50:51]
	v_add_f64 v[50:51], v[92:93], -v[80:81]
	v_add_f64 v[92:93], v[118:119], v[116:117]
	v_add_f64 v[64:65], v[106:107], -v[114:115]
	v_add_f64 v[74:75], v[54:55], v[96:97]
	v_add_f64 v[88:89], v[48:49], v[44:45]
	v_fma_f64 v[40:41], v[172:173], v[40:41], v[58:59]
	v_add_f64 v[58:59], v[104:105], v[108:109]
	v_add_f64 v[44:45], v[44:45], -v[48:49]
	v_add_f64 v[48:49], v[90:91], -v[78:79]
	v_add_f64 v[80:81], v[42:43], v[38:39]
	v_add_f64 v[90:91], v[114:115], v[110:111]
	;; [unrolled: 1-line block ×5, first 2 shown]
	v_add_f64 v[38:39], v[38:39], -v[42:43]
	v_add_f64 v[42:43], v[114:115], -v[110:111]
	v_add_f64 v[72:73], v[52:53], v[98:99]
	v_add_f64 v[92:93], v[88:89], v[92:93]
	;; [unrolled: 1-line block ×4, first 2 shown]
	v_add_f64 v[86:87], v[58:59], -v[102:103]
	v_add_f64 v[36:37], v[36:37], -v[40:41]
	;; [unrolled: 1-line block ×3, first 2 shown]
	v_add_f64 v[90:91], v[106:107], v[90:91]
	v_add_f64 v[58:59], v[110:111], -v[106:107]
	v_add_f64 v[108:109], v[80:81], v[108:109]
	v_add_f64 v[106:107], v[52:53], -v[98:99]
	v_add_f64 v[110:111], v[118:119], -v[116:117]
	;; [unrolled: 1-line block ×6, first 2 shown]
	v_add_f64 v[118:119], v[44:45], v[82:83]
	v_add_f64 v[98:99], v[98:99], -v[56:57]
	v_add_f64 v[52:53], v[56:57], -v[52:53]
	v_add_f64 v[56:57], v[72:73], v[56:57]
	v_add_f64 v[72:73], v[54:55], -v[96:97]
	v_add_f64 v[54:55], v[62:63], -v[54:55]
	;; [unrolled: 1-line block ×3, first 2 shown]
	v_add_f64 v[62:63], v[74:75], v[62:63]
	v_add_f64 v[74:75], v[44:45], -v[82:83]
	v_add_f64 v[44:45], v[48:49], -v[44:45]
	v_add_f64 v[82:83], v[82:83], -v[48:49]
	v_add_f64 v[132:133], v[38:39], -v[60:61]
	v_add_f64 v[34:35], v[34:35], v[94:95]
	v_add_f64 v[32:33], v[32:33], v[92:93]
	;; [unrolled: 1-line block ×4, first 2 shown]
	v_add_f64 v[102:103], v[102:103], -v[112:113]
	v_add_f64 v[112:113], v[122:123], -v[120:121]
	v_add_f64 v[120:121], v[46:47], v[76:77]
	v_add_f64 v[122:123], v[128:129], -v[124:125]
	v_add_f64 v[124:125], v[124:125], -v[78:79]
	;; [unrolled: 1-line block ×6, first 2 shown]
	v_mul_f64 v[86:87], v[86:87], s[8:9]
	v_mul_f64 v[58:59], v[58:59], s[8:9]
	;; [unrolled: 1-line block ×3, first 2 shown]
	v_add_f64 v[48:49], v[118:119], v[48:49]
	v_add_f64 v[118:119], v[46:47], -v[76:77]
	v_add_f64 v[46:47], v[50:51], -v[46:47]
	;; [unrolled: 1-line block ×3, first 2 shown]
	v_mul_f64 v[72:73], v[72:73], s[16:17]
	v_mul_f64 v[114:115], v[114:115], s[8:9]
	;; [unrolled: 1-line block ×3, first 2 shown]
	v_add_f64 v[30:31], v[30:31], v[90:91]
	v_mul_f64 v[74:75], v[74:75], s[16:17]
	v_add_f64 v[26:27], v[26:27], v[108:109]
	v_fma_f64 v[94:95], v[94:95], s[24:25], v[34:35]
	v_fma_f64 v[92:93], v[92:93], s[24:25], v[32:33]
	v_add_f64 v[24:25], v[24:25], v[104:105]
	v_add_f64 v[28:29], v[28:29], v[84:85]
	v_mul_f64 v[130:131], v[102:103], s[0:1]
	v_add_f64 v[50:51], v[120:121], v[50:51]
	v_mul_f64 v[120:121], v[64:65], s[0:1]
	v_mul_f64 v[124:125], v[124:125], s[8:9]
	v_fma_f64 v[102:103], v[102:103], s[0:1], v[86:87]
	v_fma_f64 v[64:65], v[64:65], s[0:1], v[58:59]
	v_mul_f64 v[118:119], v[118:119], s[16:17]
	v_fma_f64 v[90:91], v[90:91], s[24:25], v[30:31]
	v_fma_f64 v[108:109], v[108:109], s[24:25], v[26:27]
	v_fma_f64 v[104:105], v[104:105], s[24:25], v[24:25]
	v_fma_f64 v[84:85], v[84:85], s[24:25], v[28:29]
	v_fma_f64 v[130:131], v[40:41], s[10:11], -v[130:131]
	v_fma_f64 v[40:41], v[40:41], s[14:15], -v[86:87]
	v_mul_f64 v[86:87], v[98:99], s[12:13]
	v_fma_f64 v[120:121], v[42:43], s[10:11], -v[120:121]
	v_fma_f64 v[42:43], v[42:43], s[14:15], -v[58:59]
	v_mul_f64 v[58:59], v[96:97], s[12:13]
	v_fma_f64 v[98:99], v[98:99], s[12:13], -v[106:107]
	v_fma_f64 v[106:107], v[52:53], s[18:19], v[106:107]
	v_fma_f64 v[96:97], v[96:97], s[12:13], -v[72:73]
	v_fma_f64 v[72:73], v[54:55], s[18:19], v[72:73]
	v_add_f64 v[64:65], v[64:65], v[90:91]
	v_fma_f64 v[52:53], v[52:53], s[20:21], -v[86:87]
	v_mul_f64 v[86:87], v[88:89], s[0:1]
	v_fma_f64 v[88:89], v[88:89], s[0:1], v[114:115]
	v_fma_f64 v[54:55], v[54:55], s[20:21], -v[58:59]
	v_mul_f64 v[58:59], v[82:83], s[12:13]
	v_fma_f64 v[82:83], v[82:83], s[12:13], -v[74:75]
	v_fma_f64 v[74:75], v[44:45], s[18:19], v[74:75]
	v_fma_f64 v[106:107], v[56:57], s[22:23], v[106:107]
	;; [unrolled: 1-line block ×6, first 2 shown]
	v_fma_f64 v[86:87], v[110:111], s[10:11], -v[86:87]
	v_fma_f64 v[110:111], v[110:111], s[14:15], -v[114:115]
	v_mul_f64 v[114:115], v[76:77], s[12:13]
	v_fma_f64 v[44:45], v[44:45], s[20:21], -v[58:59]
	v_mul_f64 v[58:59], v[100:101], s[0:1]
	v_fma_f64 v[76:77], v[76:77], s[12:13], -v[118:119]
	v_fma_f64 v[118:119], v[46:47], s[18:19], v[118:119]
	v_fma_f64 v[100:101], v[100:101], s[0:1], v[116:117]
	;; [unrolled: 1-line block ×3, first 2 shown]
	v_add_f64 v[62:63], v[102:103], v[84:85]
	v_add_f64 v[54:55], v[40:41], v[84:85]
	;; [unrolled: 1-line block ×4, first 2 shown]
	v_fma_f64 v[120:121], v[48:49], s[22:23], v[74:75]
	v_fma_f64 v[74:75], v[48:49], s[22:23], v[82:83]
	v_add_f64 v[84:85], v[130:131], v[84:85]
	v_add_f64 v[88:89], v[88:89], v[92:93]
	;; [unrolled: 1-line block ×4, first 2 shown]
	v_fma_f64 v[46:47], v[46:47], s[20:21], -v[114:115]
	v_add_f64 v[114:115], v[36:37], v[70:71]
	v_fma_f64 v[58:59], v[112:113], s[10:11], -v[58:59]
	v_fma_f64 v[112:113], v[112:113], s[14:15], -v[116:117]
	v_add_f64 v[116:117], v[36:37], -v[70:71]
	v_add_f64 v[70:71], v[70:71], -v[66:67]
	;; [unrolled: 1-line block ×3, first 2 shown]
	v_fma_f64 v[76:77], v[50:51], s[22:23], v[76:77]
	v_fma_f64 v[118:119], v[50:51], s[22:23], v[118:119]
	v_add_f64 v[100:101], v[100:101], v[94:95]
	v_add_f64 v[40:41], v[52:53], v[54:55]
	v_add_f64 v[42:43], v[102:103], -v[56:57]
	v_add_f64 v[52:53], v[54:55], -v[52:53]
	v_add_f64 v[54:55], v[56:57], v[102:103]
	v_add_f64 v[56:57], v[62:63], -v[72:73]
	v_fma_f64 v[82:83], v[50:51], s[22:23], v[46:47]
	v_add_f64 v[66:67], v[114:115], v[66:67]
	v_add_f64 v[114:115], v[38:39], v[60:61]
	v_add_f64 v[60:61], v[60:61], -v[68:69]
	v_add_f64 v[38:39], v[68:69], -v[38:39]
	v_add_f64 v[112:113], v[112:113], v[94:95]
	v_add_f64 v[92:93], v[58:59], v[94:95]
	v_add_f64 v[58:59], v[106:107], v[64:65]
	v_add_f64 v[50:51], v[90:91], -v[98:99]
	v_add_f64 v[46:47], v[98:99], v[90:91]
	v_add_f64 v[68:69], v[114:115], v[68:69]
	v_mul_f64 v[114:115], v[116:117], s[16:17]
	v_mul_f64 v[116:117], v[70:71], s[12:13]
	s_delay_alu instid0(VALU_DEP_2) | instskip(SKIP_1) | instid1(VALU_DEP_3)
	v_fma_f64 v[70:71], v[70:71], s[12:13], -v[114:115]
	v_fma_f64 v[114:115], v[36:37], s[18:19], v[114:115]
	v_fma_f64 v[36:37], v[36:37], s[20:21], -v[116:117]
	v_mul_f64 v[116:117], v[132:133], s[16:17]
	v_mul_f64 v[132:133], v[60:61], s[12:13]
	v_fma_f64 v[130:131], v[66:67], s[22:23], v[70:71]
	v_fma_f64 v[114:115], v[66:67], s[22:23], v[114:115]
	;; [unrolled: 1-line block ×3, first 2 shown]
	v_fma_f64 v[60:61], v[60:61], s[12:13], -v[116:117]
	v_fma_f64 v[116:117], v[38:39], s[18:19], v[116:117]
	v_fma_f64 v[38:39], v[38:39], s[20:21], -v[132:133]
	v_mul_f64 v[132:133], v[78:79], s[0:1]
	v_fma_f64 v[78:79], v[78:79], s[0:1], v[124:125]
	v_add_f64 v[36:37], v[72:73], v[62:63]
	v_add_f64 v[70:71], v[74:75], v[92:93]
	;; [unrolled: 1-line block ×3, first 2 shown]
	v_add_f64 v[74:75], v[92:93], -v[74:75]
	v_add_f64 v[62:63], v[100:101], -v[120:121]
	v_fma_f64 v[134:135], v[68:69], s[22:23], v[60:61]
	v_fma_f64 v[116:117], v[68:69], s[22:23], v[116:117]
	;; [unrolled: 1-line block ×3, first 2 shown]
	v_fma_f64 v[132:133], v[122:123], s[10:11], -v[132:133]
	v_fma_f64 v[122:123], v[122:123], s[14:15], -v[124:125]
	v_mul_f64 v[124:125], v[126:127], s[8:9]
	v_mul_f64 v[126:127], v[80:81], s[0:1]
	v_add_f64 v[141:142], v[78:79], v[104:105]
	v_add_f64 v[38:39], v[64:65], -v[106:107]
	v_add_f64 v[64:65], v[82:83], v[110:111]
	v_add_f64 v[68:69], v[86:87], -v[76:77]
	v_add_f64 v[76:77], v[110:111], -v[82:83]
	v_add_f64 v[82:83], v[120:121], v[100:101]
	v_add_f64 v[60:61], v[118:119], v[88:89]
	;; [unrolled: 1-line block ×3, first 2 shown]
	v_fma_f64 v[80:81], v[80:81], s[0:1], v[124:125]
	v_fma_f64 v[124:125], v[128:129], s[14:15], -v[124:125]
	v_fma_f64 v[126:127], v[128:129], s[10:11], -v[126:127]
	v_fma_f64 v[128:129], v[48:49], s[22:23], v[44:45]
	v_add_f64 v[104:105], v[132:133], v[104:105]
	v_add_f64 v[48:49], v[96:97], v[84:85]
	v_add_f64 v[44:45], v[84:85], -v[96:97]
	v_add_f64 v[84:85], v[116:117], v[141:142]
	v_add_f64 v[100:101], v[122:123], -v[139:140]
	v_add_f64 v[143:144], v[80:81], v[108:109]
	v_add_f64 v[124:125], v[124:125], v[108:109]
	;; [unrolled: 1-line block ×3, first 2 shown]
	v_add_f64 v[66:67], v[112:113], -v[128:129]
	v_add_f64 v[80:81], v[88:89], -v[118:119]
	v_add_f64 v[88:89], v[139:140], v[122:123]
	v_add_f64 v[92:93], v[104:105], -v[134:135]
	v_add_f64 v[96:97], v[134:135], v[104:105]
	v_add_f64 v[78:79], v[128:129], v[112:113]
	v_add_f64 v[104:105], v[141:142], -v[116:117]
	v_add_f64 v[86:87], v[143:144], -v[114:115]
	;; [unrolled: 1-line block ×3, first 2 shown]
	v_add_f64 v[94:95], v[130:131], v[108:109]
	v_add_f64 v[98:99], v[108:109], -v[130:131]
	v_add_f64 v[102:103], v[137:138], v[124:125]
	v_add_f64 v[106:107], v[114:115], v[143:144]
	ds_store_b128 v136, v[28:31]
	ds_store_b128 v136, v[32:35] offset:1008
	ds_store_b128 v136, v[24:27] offset:2016
	;; [unrolled: 1-line block ×20, first 2 shown]
	s_and_saveexec_b32 s26, vcc_lo
	s_cbranch_execz .LBB0_9
; %bb.8:
	s_clause 0x5
	scratch_load_b128 v[56:59], off, off offset:1780
	scratch_load_b128 v[70:73], off, off
	scratch_load_b128 v[60:63], off, off offset:1796
	scratch_load_b128 v[66:69], off, off offset:1828
	;; [unrolled: 1-line block ×4, first 2 shown]
	s_waitcnt vmcnt(4)
	v_mul_f64 v[24:25], v[58:59], v[70:71]
	s_waitcnt vmcnt(3)
	v_mul_f64 v[28:29], v[62:63], v[20:21]
	v_mul_f64 v[38:39], v[62:63], v[22:23]
	scratch_load_b128 v[62:65], off, off offset:1812 ; 16-byte Folded Reload
	s_waitcnt vmcnt(2)
	v_mul_f64 v[26:27], v[50:51], v[4:5]
	s_waitcnt vmcnt(1)
	v_mul_f64 v[30:31], v[54:55], v[8:9]
	v_mul_f64 v[32:33], v[50:51], v[6:7]
	;; [unrolled: 1-line block ×6, first 2 shown]
	v_fma_f64 v[24:25], v[56:57], v[72:73], -v[24:25]
	v_fma_f64 v[22:23], v[60:61], v[22:23], -v[28:29]
	v_fma_f64 v[20:21], v[60:61], v[20:21], v[38:39]
	v_fma_f64 v[6:7], v[48:49], v[6:7], -v[26:27]
	v_fma_f64 v[10:11], v[52:53], v[10:11], -v[30:31]
	v_fma_f64 v[4:5], v[48:49], v[4:5], v[32:33]
	v_fma_f64 v[26:27], v[56:57], v[70:71], v[34:35]
	;; [unrolled: 1-line block ×4, first 2 shown]
	v_fma_f64 v[18:19], v[66:67], v[18:19], -v[46:47]
	v_add_f64 v[28:29], v[6:7], v[24:25]
	v_add_f64 v[30:31], v[10:11], v[22:23]
	v_add_f64 v[10:11], v[10:11], -v[22:23]
	v_add_f64 v[32:33], v[4:5], v[26:27]
	v_add_f64 v[34:35], v[8:9], v[20:21]
	v_add_f64 v[8:9], v[8:9], -v[20:21]
	v_add_f64 v[4:5], v[4:5], -v[26:27]
	;; [unrolled: 1-line block ×3, first 2 shown]
	s_delay_alu instid0(VALU_DEP_2) | instskip(SKIP_3) | instid1(VALU_DEP_2)
	v_add_f64 v[38:39], v[8:9], -v[4:5]
	s_waitcnt vmcnt(0)
	v_mul_f64 v[42:43], v[64:65], v[14:15]
	v_mul_f64 v[44:45], v[64:65], v[12:13]
	v_fma_f64 v[12:13], v[62:63], v[12:13], v[42:43]
	s_delay_alu instid0(VALU_DEP_2) | instskip(SKIP_1) | instid1(VALU_DEP_3)
	v_fma_f64 v[14:15], v[62:63], v[14:15], -v[44:45]
	v_add_f64 v[42:43], v[10:11], -v[6:7]
	v_add_f64 v[36:37], v[16:17], -v[12:13]
	s_delay_alu instid0(VALU_DEP_3)
	v_add_f64 v[20:21], v[14:15], v[18:19]
	v_add_f64 v[12:13], v[12:13], v[16:17]
	;; [unrolled: 1-line block ×3, first 2 shown]
	v_add_f64 v[14:15], v[18:19], -v[14:15]
	v_add_f64 v[18:19], v[34:35], v[32:33]
	v_mul_f64 v[46:47], v[42:43], s[12:13]
	v_add_f64 v[22:23], v[36:37], -v[8:9]
	v_add_f64 v[24:25], v[28:29], -v[20:21]
	;; [unrolled: 1-line block ×3, first 2 shown]
	v_add_f64 v[16:17], v[20:21], v[16:17]
	v_add_f64 v[20:21], v[20:21], -v[30:31]
	v_add_f64 v[40:41], v[14:15], -v[10:11]
	v_add_f64 v[18:19], v[12:13], v[18:19]
	v_add_f64 v[12:13], v[12:13], -v[34:35]
	v_add_f64 v[44:45], v[4:5], -v[36:37]
	v_add_f64 v[8:9], v[36:37], v[8:9]
	v_add_f64 v[10:11], v[14:15], v[10:11]
	v_mul_f64 v[36:37], v[38:39], s[12:13]
	v_add_f64 v[14:15], v[6:7], -v[14:15]
	v_add_f64 v[28:29], v[30:31], -v[28:29]
	;; [unrolled: 1-line block ×3, first 2 shown]
	v_mul_f64 v[22:23], v[22:23], s[16:17]
	v_mul_f64 v[24:25], v[24:25], s[8:9]
	;; [unrolled: 1-line block ×3, first 2 shown]
	v_add_f64 v[2:3], v[2:3], v[16:17]
	v_mul_f64 v[30:31], v[20:21], s[0:1]
	v_mul_f64 v[40:41], v[40:41], s[16:17]
	v_add_f64 v[0:1], v[0:1], v[18:19]
	v_mul_f64 v[34:35], v[12:13], s[0:1]
	v_add_f64 v[4:5], v[8:9], v[4:5]
	v_add_f64 v[6:7], v[10:11], v[6:7]
	v_fma_f64 v[8:9], v[44:45], s[18:19], v[22:23]
	v_fma_f64 v[10:11], v[20:21], s[0:1], v[24:25]
	;; [unrolled: 1-line block ×3, first 2 shown]
	v_fma_f64 v[20:21], v[44:45], s[20:21], -v[36:37]
	v_fma_f64 v[22:23], v[38:39], s[12:13], -v[22:23]
	v_fma_f64 v[16:17], v[16:17], s[24:25], v[2:3]
	v_fma_f64 v[24:25], v[28:29], s[14:15], -v[24:25]
	v_fma_f64 v[28:29], v[28:29], s[10:11], -v[30:31]
	v_fma_f64 v[30:31], v[14:15], s[18:19], v[40:41]
	v_fma_f64 v[18:19], v[18:19], s[24:25], v[0:1]
	v_fma_f64 v[14:15], v[14:15], s[20:21], -v[46:47]
	v_fma_f64 v[26:27], v[32:33], s[14:15], -v[26:27]
	;; [unrolled: 1-line block ×4, first 2 shown]
	v_fma_f64 v[8:9], v[4:5], s[22:23], v[8:9]
	v_fma_f64 v[20:21], v[4:5], s[22:23], v[20:21]
	;; [unrolled: 1-line block ×3, first 2 shown]
	v_add_f64 v[34:35], v[10:11], v[16:17]
	v_add_f64 v[22:23], v[24:25], v[16:17]
	;; [unrolled: 1-line block ×3, first 2 shown]
	v_fma_f64 v[28:29], v[6:7], s[22:23], v[30:31]
	v_add_f64 v[38:39], v[12:13], v[18:19]
	v_fma_f64 v[30:31], v[6:7], s[22:23], v[14:15]
	v_add_f64 v[40:41], v[26:27], v[18:19]
	;; [unrolled: 2-line block ×3, first 2 shown]
	v_add_f64 v[26:27], v[34:35], -v[8:9]
	v_add_f64 v[10:11], v[20:21], v[22:23]
	v_add_f64 v[22:23], v[22:23], -v[20:21]
	v_add_f64 v[14:15], v[16:17], -v[4:5]
	v_add_f64 v[24:25], v[28:29], v[38:39]
	v_add_f64 v[18:19], v[4:5], v[16:17]
	v_add_f64 v[20:21], v[30:31], v[40:41]
	v_add_f64 v[6:7], v[8:9], v[34:35]
	v_add_f64 v[16:17], v[12:13], -v[36:37]
	v_add_f64 v[12:13], v[36:37], v[12:13]
	v_add_f64 v[8:9], v[40:41], -v[30:31]
	v_add_f64 v[4:5], v[38:39], -v[28:29]
	ds_store_b128 v136, v[0:3] offset:3024
	ds_store_b128 v136, v[24:27] offset:6912
	;; [unrolled: 1-line block ×7, first 2 shown]
.LBB0_9:
	s_or_b32 exec_lo, exec_lo, s26
	s_waitcnt lgkmcnt(0)
	s_waitcnt_vscnt null, 0x0
	s_barrier
	buffer_gl0_inv
	ds_load_b128 v[0:3], v136
	ds_load_b128 v[4:7], v136 offset:9072
	ds_load_b128 v[8:11], v136 offset:18144
	scratch_load_b64 v[100:101], off, off offset:16 ; 8-byte Folded Reload
	ds_load_b128 v[12:15], v136 offset:1008
	ds_load_b128 v[18:21], v136 offset:10080
	;; [unrolled: 1-line block ×4, first 2 shown]
	s_clause 0x1
	scratch_load_b128 v[101:104], off, off offset:24
	scratch_load_b128 v[117:120], off, off offset:168
	ds_load_b128 v[30:33], v136 offset:11088
	ds_load_b128 v[34:37], v136 offset:2016
	v_mad_u64_u32 v[82:83], null, s4, v154, 0
	s_mov_b32 s0, 0x9c850ab
	s_mov_b32 s1, 0x3f434393
	s_mul_i32 s9, s5, 0x2370
	s_mul_hi_u32 s10, s4, 0x2370
	s_mul_hi_u32 s12, s4, 0xffffbd10
	s_add_i32 s9, s10, s9
	s_mul_i32 s11, s5, 0xffffbd10
	s_mul_i32 s8, s4, 0xffffbd10
	s_waitcnt vmcnt(2)
	v_mad_u64_u32 v[16:17], null, s6, v100, 0
	s_waitcnt vmcnt(1) lgkmcnt(8)
	v_mul_f64 v[70:71], v[103:104], v[2:3]
	v_mul_f64 v[72:73], v[103:104], v[0:1]
	scratch_load_b128 v[103:106], off, off offset:56 ; 16-byte Folded Reload
	s_waitcnt vmcnt(1) lgkmcnt(4)
	v_mul_f64 v[88:89], v[119:120], v[20:21]
	v_mul_f64 v[90:91], v[119:120], v[18:19]
	scratch_load_b128 v[119:122], off, off offset:184 ; 16-byte Folded Reload
	s_mul_i32 s6, s4, 0x2370
	s_sub_i32 s4, s12, s4
	s_delay_alu instid0(SALU_CYCLE_1)
	s_add_i32 s4, s4, s11
	v_fma_f64 v[0:1], v[101:102], v[0:1], v[70:71]
	v_fma_f64 v[2:3], v[101:102], v[2:3], -v[72:73]
	v_mad_u64_u32 v[71:72], null, s7, v100, v[17:18]
	v_mov_b32_e32 v70, v83
	v_fma_f64 v[18:19], v[117:118], v[18:19], v[88:89]
	v_fma_f64 v[20:21], v[117:118], v[20:21], -v[90:91]
	s_delay_alu instid0(VALU_DEP_4) | instskip(NEXT) | instid1(VALU_DEP_1)
	v_mov_b32_e32 v17, v71
	v_lshlrev_b64 v[16:17], 4, v[16:17]
	s_delay_alu instid0(VALU_DEP_1) | instskip(NEXT) | instid1(VALU_DEP_2)
	v_add_co_u32 v16, vcc_lo, s2, v16
	v_add_co_ci_u32_e32 v17, vcc_lo, s3, v17, vcc_lo
	v_mul_f64 v[0:1], v[0:1], s[0:1]
	v_mul_f64 v[2:3], v[2:3], s[0:1]
	s_waitcnt vmcnt(1)
	v_mul_f64 v[74:75], v[105:106], v[6:7]
	v_mul_f64 v[76:77], v[105:106], v[4:5]
	scratch_load_b128 v[105:108], off, off offset:88 ; 16-byte Folded Reload
	s_waitcnt vmcnt(1) lgkmcnt(3)
	v_mul_f64 v[92:93], v[121:122], v[24:25]
	v_mul_f64 v[94:95], v[121:122], v[22:23]
	v_fma_f64 v[4:5], v[103:104], v[4:5], v[74:75]
	v_fma_f64 v[6:7], v[103:104], v[6:7], -v[76:77]
	v_mad_u64_u32 v[76:77], null, s5, v154, v[70:71]
	v_fma_f64 v[22:23], v[119:120], v[22:23], v[92:93]
	v_fma_f64 v[24:25], v[119:120], v[24:25], -v[94:95]
	s_delay_alu instid0(VALU_DEP_3)
	v_mov_b32_e32 v83, v76
	v_mul_f64 v[4:5], v[4:5], s[0:1]
	v_mul_f64 v[6:7], v[6:7], s[0:1]
	s_waitcnt vmcnt(0)
	v_mul_f64 v[78:79], v[107:108], v[10:11]
	v_mul_f64 v[80:81], v[107:108], v[8:9]
	scratch_load_b128 v[107:110], off, off offset:104 ; 16-byte Folded Reload
	ds_load_b128 v[38:41], v136 offset:3024
	ds_load_b128 v[42:45], v136 offset:20160
	;; [unrolled: 1-line block ×8, first 2 shown]
	s_clause 0x1
	scratch_load_b128 v[113:116], off, off offset:152
	scratch_load_b128 v[100:103], off, off offset:40
	v_fma_f64 v[8:9], v[105:106], v[8:9], v[78:79]
	v_fma_f64 v[10:11], v[105:106], v[10:11], -v[80:81]
	v_lshlrev_b64 v[81:82], 4, v[82:83]
	s_delay_alu instid0(VALU_DEP_1) | instskip(NEXT) | instid1(VALU_DEP_2)
	v_add_co_u32 v81, vcc_lo, v16, v81
	v_add_co_ci_u32_e32 v82, vcc_lo, v17, v82, vcc_lo
	v_mul_f64 v[16:17], v[18:19], s[0:1]
	s_delay_alu instid0(VALU_DEP_3) | instskip(NEXT) | instid1(VALU_DEP_3)
	v_add_co_u32 v94, vcc_lo, v81, s6
	v_add_co_ci_u32_e32 v95, vcc_lo, s9, v82, vcc_lo
	v_mul_f64 v[18:19], v[20:21], s[0:1]
	s_delay_alu instid0(VALU_DEP_3)
	v_add_co_u32 v76, vcc_lo, v94, s6
	v_mul_f64 v[20:21], v[22:23], s[0:1]
	v_mul_f64 v[22:23], v[24:25], s[0:1]
	v_mul_f64 v[8:9], v[8:9], s[0:1]
	v_mul_f64 v[10:11], v[10:11], s[0:1]
	s_waitcnt vmcnt(2)
	v_mul_f64 v[84:85], v[109:110], v[14:15]
	v_mul_f64 v[86:87], v[109:110], v[12:13]
	scratch_load_b128 v[109:112], off, off offset:120 ; 16-byte Folded Reload
	s_waitcnt vmcnt(1) lgkmcnt(6)
	v_mul_f64 v[77:78], v[102:103], v[44:45]
	v_mul_f64 v[79:80], v[102:103], v[42:43]
	scratch_load_b128 v[102:105], off, off offset:72 ; 16-byte Folded Reload
	v_mul_f64 v[96:97], v[115:116], v[36:37]
	v_mul_f64 v[98:99], v[115:116], v[34:35]
	scratch_load_b128 v[115:118], off, off offset:440 ; 16-byte Folded Reload
	v_fma_f64 v[12:13], v[107:108], v[12:13], v[84:85]
	v_fma_f64 v[14:15], v[107:108], v[14:15], -v[86:87]
	v_fma_f64 v[24:25], v[100:101], v[42:43], v[77:78]
	v_add_co_ci_u32_e32 v77, vcc_lo, s9, v95, vcc_lo
	v_fma_f64 v[34:35], v[113:114], v[34:35], v[96:97]
	v_fma_f64 v[36:37], v[113:114], v[36:37], -v[98:99]
	v_fma_f64 v[44:45], v[100:101], v[44:45], -v[79:80]
	v_add_co_u32 v78, vcc_lo, v76, s8
	v_add_co_ci_u32_e32 v79, vcc_lo, s4, v77, vcc_lo
	scratch_load_b128 v[96:99], off, off offset:360 ; 16-byte Folded Reload
	v_mul_f64 v[12:13], v[12:13], s[0:1]
	v_mul_f64 v[14:15], v[14:15], s[0:1]
	s_waitcnt vmcnt(3)
	v_mul_f64 v[72:73], v[111:112], v[32:33]
	v_mul_f64 v[74:75], v[111:112], v[30:31]
	s_waitcnt vmcnt(2)
	v_mul_f64 v[70:71], v[104:105], v[40:41]
	v_mul_f64 v[84:85], v[104:105], v[38:39]
	scratch_load_b128 v[104:107], off, off offset:136 ; 16-byte Folded Reload
	s_clause 0x2
	global_store_b128 v[81:82], v[0:3], off
	global_store_b128 v[94:95], v[4:7], off
	;; [unrolled: 1-line block ×3, first 2 shown]
	v_add_co_u32 v4, vcc_lo, v78, s6
	s_waitcnt vmcnt(2) lgkmcnt(5)
	v_mul_f64 v[90:91], v[117:118], v[48:49]
	v_mul_f64 v[92:93], v[117:118], v[46:47]
	;; [unrolled: 1-line block ×3, first 2 shown]
	scratch_load_b128 v[80:83], off, off offset:392 ; 16-byte Folded Reload
	v_add_co_ci_u32_e32 v5, vcc_lo, s9, v79, vcc_lo
	v_fma_f64 v[72:73], v[109:110], v[30:31], v[72:73]
	v_mul_f64 v[30:31], v[34:35], s[0:1]
	v_fma_f64 v[74:75], v[109:110], v[32:33], -v[74:75]
	v_mul_f64 v[32:33], v[36:37], s[0:1]
	v_add_co_u32 v34, vcc_lo, v4, s6
	v_add_co_ci_u32_e32 v35, vcc_lo, s9, v5, vcc_lo
	s_clause 0x1
	global_store_b128 v[78:79], v[12:15], off
	global_store_b128 v[4:5], v[16:19], off
	;; [unrolled: 1-line block ×3, first 2 shown]
	v_mul_f64 v[4:5], v[24:25], s[0:1]
	v_add_co_u32 v34, vcc_lo, v34, s8
	ds_load_b128 v[8:11], v136 offset:23184
	v_add_co_ci_u32_e32 v35, vcc_lo, s4, v35, vcc_lo
	v_fma_f64 v[40:41], v[102:103], v[40:41], -v[84:85]
	v_fma_f64 v[38:39], v[102:103], v[38:39], v[70:71]
	v_fma_f64 v[46:47], v[115:116], v[46:47], v[90:91]
	v_fma_f64 v[48:49], v[115:116], v[48:49], -v[92:93]
	s_waitcnt vmcnt(2) lgkmcnt(2)
	v_mul_f64 v[42:43], v[98:99], v[64:65]
	v_mul_f64 v[70:71], v[98:99], v[62:63]
	v_mul_f64 v[0:1], v[72:73], s[0:1]
	v_mul_f64 v[2:3], v[74:75], s[0:1]
	global_store_b128 v[34:35], v[30:33], off
	ds_load_b128 v[30:33], v136 offset:6048
	v_mul_f64 v[14:15], v[40:41], s[0:1]
	v_mul_f64 v[12:13], v[38:39], s[0:1]
	;; [unrolled: 1-line block ×4, first 2 shown]
	v_fma_f64 v[38:39], v[96:97], v[62:63], v[42:43]
	v_add_co_u32 v42, vcc_lo, v34, s6
	v_add_co_ci_u32_e32 v43, vcc_lo, s9, v35, vcc_lo
	v_fma_f64 v[40:41], v[96:97], v[64:65], -v[70:71]
	s_delay_alu instid0(VALU_DEP_3) | instskip(NEXT) | instid1(VALU_DEP_3)
	v_add_co_u32 v34, vcc_lo, v42, s6
	v_add_co_ci_u32_e32 v35, vcc_lo, s9, v43, vcc_lo
	global_store_b128 v[42:43], v[0:3], off
	ds_load_b128 v[0:3], v136 offset:14112
	v_add_co_u32 v42, vcc_lo, v34, s8
	v_add_co_ci_u32_e32 v43, vcc_lo, s4, v35, vcc_lo
	s_waitcnt vmcnt(1)
	v_mul_f64 v[86:87], v[106:107], v[52:53]
	v_mul_f64 v[88:89], v[106:107], v[50:51]
	s_waitcnt vmcnt(0)
	v_mul_f64 v[36:37], v[82:83], v[56:57]
	v_mul_f64 v[72:73], v[82:83], v[54:55]
	scratch_load_b128 v[82:85], off, off offset:408 ; 16-byte Folded Reload
	v_fma_f64 v[50:51], v[104:105], v[50:51], v[86:87]
	v_fma_f64 v[52:53], v[104:105], v[52:53], -v[88:89]
	v_fma_f64 v[46:47], v[80:81], v[54:55], v[36:37]
	v_fma_f64 v[48:49], v[80:81], v[56:57], -v[72:73]
	v_add_co_u32 v36, vcc_lo, v42, s6
	v_add_co_ci_u32_e32 v37, vcc_lo, s9, v43, vcc_lo
	s_delay_alu instid0(VALU_DEP_2) | instskip(NEXT) | instid1(VALU_DEP_2)
	v_add_co_u32 v44, vcc_lo, v36, s6
	v_add_co_ci_u32_e32 v45, vcc_lo, s9, v37, vcc_lo
	s_delay_alu instid0(VALU_DEP_2) | instskip(NEXT) | instid1(VALU_DEP_2)
	v_add_co_u32 v70, vcc_lo, v44, s8
	v_add_co_ci_u32_e32 v71, vcc_lo, s4, v45, vcc_lo
	v_mul_f64 v[16:17], v[50:51], s[0:1]
	v_mul_f64 v[18:19], v[52:53], s[0:1]
	;; [unrolled: 1-line block ×4, first 2 shown]
	s_waitcnt vmcnt(0)
	v_mul_f64 v[24:25], v[84:85], v[60:61]
	v_mul_f64 v[74:75], v[84:85], v[58:59]
	scratch_load_b128 v[84:87], off, off offset:424 ; 16-byte Folded Reload
	global_store_b128 v[34:35], v[4:7], off
	global_store_b128 v[42:43], v[12:15], off
	;; [unrolled: 1-line block ×4, first 2 shown]
	v_mul_f64 v[4:5], v[38:39], s[0:1]
	v_mul_f64 v[6:7], v[40:41], s[0:1]
	scratch_load_b128 v[106:109], off, off offset:200 ; 16-byte Folded Reload
	ds_load_b128 v[12:15], v136 offset:15120
	ds_load_b128 v[16:19], v136 offset:24192
	v_fma_f64 v[24:25], v[82:83], v[58:59], v[24:25]
	v_fma_f64 v[56:57], v[82:83], v[60:61], -v[74:75]
	s_delay_alu instid0(VALU_DEP_2) | instskip(NEXT) | instid1(VALU_DEP_2)
	v_mul_f64 v[54:55], v[24:25], s[0:1]
	v_mul_f64 v[56:57], v[56:57], s[0:1]
	s_waitcnt vmcnt(1) lgkmcnt(5)
	v_mul_f64 v[76:77], v[86:87], v[68:69]
	v_mul_f64 v[78:79], v[86:87], v[66:67]
	s_waitcnt vmcnt(0) lgkmcnt(2)
	v_mul_f64 v[62:63], v[108:109], v[2:3]
	v_mul_f64 v[64:65], v[108:109], v[0:1]
	scratch_load_b128 v[108:111], off, off offset:216 ; 16-byte Folded Reload
	ds_load_b128 v[20:23], v136 offset:7056
	ds_load_b128 v[34:37], v136 offset:16128
	;; [unrolled: 1-line block ×5, first 2 shown]
	v_fma_f64 v[58:59], v[84:85], v[66:67], v[76:77]
	v_fma_f64 v[60:61], v[84:85], v[68:69], -v[78:79]
	v_fma_f64 v[0:1], v[106:107], v[0:1], v[62:63]
	v_fma_f64 v[2:3], v[106:107], v[2:3], -v[64:65]
	v_add_co_u32 v62, vcc_lo, v70, s6
	v_add_co_ci_u32_e32 v63, vcc_lo, s9, v71, vcc_lo
	s_delay_alu instid0(VALU_DEP_2) | instskip(NEXT) | instid1(VALU_DEP_2)
	v_add_co_u32 v64, vcc_lo, v62, s6
	v_add_co_ci_u32_e32 v65, vcc_lo, s9, v63, vcc_lo
	v_mul_f64 v[58:59], v[58:59], s[0:1]
	v_mul_f64 v[60:61], v[60:61], s[0:1]
	;; [unrolled: 1-line block ×4, first 2 shown]
	s_waitcnt vmcnt(0)
	v_mul_f64 v[66:67], v[110:111], v[10:11]
	v_mul_f64 v[68:69], v[110:111], v[8:9]
	scratch_load_b128 v[110:113], off, off offset:232 ; 16-byte Folded Reload
	v_fma_f64 v[8:9], v[108:109], v[8:9], v[66:67]
	v_fma_f64 v[10:11], v[108:109], v[10:11], -v[68:69]
	v_add_co_u32 v66, vcc_lo, v64, s8
	v_add_co_ci_u32_e32 v67, vcc_lo, s4, v65, vcc_lo
	s_waitcnt vmcnt(0)
	v_mul_f64 v[72:73], v[112:113], v[32:33]
	v_mul_f64 v[74:75], v[112:113], v[30:31]
	scratch_load_b128 v[112:115], off, off offset:248 ; 16-byte Folded Reload
	v_fma_f64 v[30:31], v[110:111], v[30:31], v[72:73]
	v_fma_f64 v[32:33], v[110:111], v[32:33], -v[74:75]
	s_waitcnt vmcnt(0) lgkmcnt(6)
	v_mul_f64 v[76:77], v[114:115], v[14:15]
	v_mul_f64 v[78:79], v[114:115], v[12:13]
	scratch_load_b128 v[114:117], off, off offset:264 ; 16-byte Folded Reload
	v_fma_f64 v[12:13], v[112:113], v[12:13], v[76:77]
	v_fma_f64 v[14:15], v[112:113], v[14:15], -v[78:79]
	s_delay_alu instid0(VALU_DEP_2) | instskip(NEXT) | instid1(VALU_DEP_2)
	v_mul_f64 v[12:13], v[12:13], s[0:1]
	v_mul_f64 v[14:15], v[14:15], s[0:1]
	s_waitcnt vmcnt(0) lgkmcnt(5)
	v_mul_f64 v[80:81], v[116:117], v[18:19]
	v_mul_f64 v[82:83], v[116:117], v[16:17]
	scratch_load_b128 v[116:119], off, off offset:280 ; 16-byte Folded Reload
	v_fma_f64 v[16:17], v[114:115], v[16:17], v[80:81]
	v_fma_f64 v[18:19], v[114:115], v[18:19], -v[82:83]
	s_delay_alu instid0(VALU_DEP_2) | instskip(NEXT) | instid1(VALU_DEP_2)
	v_mul_f64 v[16:17], v[16:17], s[0:1]
	v_mul_f64 v[18:19], v[18:19], s[0:1]
	;; [unrolled: 9-line block ×3, first 2 shown]
	s_waitcnt vmcnt(0) lgkmcnt(3)
	v_mul_f64 v[86:87], v[120:121], v[36:37]
	v_mul_f64 v[88:89], v[120:121], v[34:35]
	scratch_load_b128 v[120:123], off, off offset:312 ; 16-byte Folded Reload
	v_fma_f64 v[24:25], v[118:119], v[34:35], v[86:87]
	v_fma_f64 v[34:35], v[118:119], v[36:37], -v[88:89]
	s_delay_alu instid0(VALU_DEP_2)
	v_mul_f64 v[24:25], v[24:25], s[0:1]
	s_waitcnt vmcnt(0) lgkmcnt(2)
	v_mul_f64 v[90:91], v[122:123], v[40:41]
	v_mul_f64 v[92:93], v[122:123], v[38:39]
	scratch_load_b128 v[122:125], off, off offset:328 ; 16-byte Folded Reload
	v_fma_f64 v[36:37], v[120:121], v[38:39], v[90:91]
	v_fma_f64 v[38:39], v[120:121], v[40:41], -v[92:93]
	s_waitcnt vmcnt(0)
	v_mul_f64 v[94:95], v[124:125], v[28:29]
	v_mul_f64 v[96:97], v[124:125], v[26:27]
	scratch_load_b128 v[124:127], off, off offset:344 ; 16-byte Folded Reload
	v_fma_f64 v[40:41], v[122:123], v[26:27], v[94:95]
	v_mul_f64 v[26:27], v[34:35], s[0:1]
	s_waitcnt vmcnt(0) lgkmcnt(1)
	v_mul_f64 v[98:99], v[126:127], v[44:45]
	v_mul_f64 v[100:101], v[126:127], v[42:43]
	scratch_load_b128 v[126:129], off, off offset:376 ; 16-byte Folded Reload
	global_store_b128 v[70:71], v[4:7], off
	global_store_b128 v[62:63], v[46:49], off
	;; [unrolled: 1-line block ×4, first 2 shown]
	v_fma_f64 v[46:47], v[122:123], v[28:29], -v[96:97]
	v_mul_f64 v[4:5], v[8:9], s[0:1]
	v_mul_f64 v[6:7], v[10:11], s[0:1]
	v_mul_f64 v[8:9], v[30:31], s[0:1]
	v_mul_f64 v[10:11], v[32:33], s[0:1]
	v_mul_f64 v[28:29], v[36:37], s[0:1]
	v_mul_f64 v[30:31], v[38:39], s[0:1]
	v_mul_f64 v[32:33], v[40:41], s[0:1]
	v_fma_f64 v[42:43], v[124:125], v[42:43], v[98:99]
	v_fma_f64 v[44:45], v[124:125], v[44:45], -v[100:101]
	v_mul_f64 v[34:35], v[46:47], s[0:1]
	s_delay_alu instid0(VALU_DEP_3) | instskip(NEXT) | instid1(VALU_DEP_3)
	v_mul_f64 v[36:37], v[42:43], s[0:1]
	v_mul_f64 v[38:39], v[44:45], s[0:1]
	s_waitcnt vmcnt(0) lgkmcnt(0)
	v_mul_f64 v[102:103], v[128:129], v[52:53]
	v_mul_f64 v[104:105], v[128:129], v[50:51]
	s_delay_alu instid0(VALU_DEP_2) | instskip(NEXT) | instid1(VALU_DEP_2)
	v_fma_f64 v[48:49], v[126:127], v[50:51], v[102:103]
	v_fma_f64 v[50:51], v[126:127], v[52:53], -v[104:105]
	v_add_co_u32 v52, vcc_lo, v66, s6
	v_add_co_ci_u32_e32 v53, vcc_lo, s9, v67, vcc_lo
	s_delay_alu instid0(VALU_DEP_2) | instskip(NEXT) | instid1(VALU_DEP_2)
	v_add_co_u32 v54, vcc_lo, v52, s6
	v_add_co_ci_u32_e32 v55, vcc_lo, s9, v53, vcc_lo
	global_store_b128 v[52:53], v[0:3], off
	v_add_co_u32 v56, vcc_lo, v54, s8
	v_add_co_ci_u32_e32 v57, vcc_lo, s4, v55, vcc_lo
	global_store_b128 v[54:55], v[4:7], off
	;; [unrolled: 3-line block ×6, first 2 shown]
	v_add_co_u32 v4, vcc_lo, v2, s6
	v_add_co_ci_u32_e32 v5, vcc_lo, s9, v3, vcc_lo
	v_mul_f64 v[40:41], v[48:49], s[0:1]
	v_mul_f64 v[42:43], v[50:51], s[0:1]
	s_delay_alu instid0(VALU_DEP_4) | instskip(NEXT) | instid1(VALU_DEP_4)
	v_add_co_u32 v6, vcc_lo, v4, s8
	v_add_co_ci_u32_e32 v7, vcc_lo, s4, v5, vcc_lo
	s_delay_alu instid0(VALU_DEP_2) | instskip(NEXT) | instid1(VALU_DEP_2)
	v_add_co_u32 v8, vcc_lo, v6, s6
	v_add_co_ci_u32_e32 v9, vcc_lo, s9, v7, vcc_lo
	s_delay_alu instid0(VALU_DEP_2) | instskip(NEXT) | instid1(VALU_DEP_2)
	v_add_co_u32 v0, vcc_lo, v8, s6
	v_add_co_ci_u32_e32 v1, vcc_lo, s9, v9, vcc_lo
	global_store_b128 v[2:3], v[24:27], off
	global_store_b128 v[4:5], v[28:31], off
	;; [unrolled: 1-line block ×5, first 2 shown]
.LBB0_10:
	s_nop 0
	s_sendmsg sendmsg(MSG_DEALLOC_VGPRS)
	s_endpgm
	.section	.rodata,"a",@progbits
	.p2align	6, 0x0
	.amdhsa_kernel bluestein_single_back_len1701_dim1_dp_op_CI_CI
		.amdhsa_group_segment_fixed_size 27216
		.amdhsa_private_segment_fixed_size 1848
		.amdhsa_kernarg_size 104
		.amdhsa_user_sgpr_count 15
		.amdhsa_user_sgpr_dispatch_ptr 0
		.amdhsa_user_sgpr_queue_ptr 0
		.amdhsa_user_sgpr_kernarg_segment_ptr 1
		.amdhsa_user_sgpr_dispatch_id 0
		.amdhsa_user_sgpr_private_segment_size 0
		.amdhsa_wavefront_size32 1
		.amdhsa_uses_dynamic_stack 0
		.amdhsa_enable_private_segment 1
		.amdhsa_system_sgpr_workgroup_id_x 1
		.amdhsa_system_sgpr_workgroup_id_y 0
		.amdhsa_system_sgpr_workgroup_id_z 0
		.amdhsa_system_sgpr_workgroup_info 0
		.amdhsa_system_vgpr_workitem_id 0
		.amdhsa_next_free_vgpr 256
		.amdhsa_next_free_sgpr 28
		.amdhsa_reserve_vcc 1
		.amdhsa_float_round_mode_32 0
		.amdhsa_float_round_mode_16_64 0
		.amdhsa_float_denorm_mode_32 3
		.amdhsa_float_denorm_mode_16_64 3
		.amdhsa_dx10_clamp 1
		.amdhsa_ieee_mode 1
		.amdhsa_fp16_overflow 0
		.amdhsa_workgroup_processor_mode 1
		.amdhsa_memory_ordered 1
		.amdhsa_forward_progress 0
		.amdhsa_shared_vgpr_count 0
		.amdhsa_exception_fp_ieee_invalid_op 0
		.amdhsa_exception_fp_denorm_src 0
		.amdhsa_exception_fp_ieee_div_zero 0
		.amdhsa_exception_fp_ieee_overflow 0
		.amdhsa_exception_fp_ieee_underflow 0
		.amdhsa_exception_fp_ieee_inexact 0
		.amdhsa_exception_int_div_zero 0
	.end_amdhsa_kernel
	.text
.Lfunc_end0:
	.size	bluestein_single_back_len1701_dim1_dp_op_CI_CI, .Lfunc_end0-bluestein_single_back_len1701_dim1_dp_op_CI_CI
                                        ; -- End function
	.section	.AMDGPU.csdata,"",@progbits
; Kernel info:
; codeLenInByte = 43668
; NumSgprs: 30
; NumVgprs: 256
; ScratchSize: 1848
; MemoryBound: 0
; FloatMode: 240
; IeeeMode: 1
; LDSByteSize: 27216 bytes/workgroup (compile time only)
; SGPRBlocks: 3
; VGPRBlocks: 31
; NumSGPRsForWavesPerEU: 30
; NumVGPRsForWavesPerEU: 256
; Occupancy: 2
; WaveLimiterHint : 1
; COMPUTE_PGM_RSRC2:SCRATCH_EN: 1
; COMPUTE_PGM_RSRC2:USER_SGPR: 15
; COMPUTE_PGM_RSRC2:TRAP_HANDLER: 0
; COMPUTE_PGM_RSRC2:TGID_X_EN: 1
; COMPUTE_PGM_RSRC2:TGID_Y_EN: 0
; COMPUTE_PGM_RSRC2:TGID_Z_EN: 0
; COMPUTE_PGM_RSRC2:TIDIG_COMP_CNT: 0
	.text
	.p2alignl 7, 3214868480
	.fill 96, 4, 3214868480
	.type	__hip_cuid_c26be3282001a653,@object ; @__hip_cuid_c26be3282001a653
	.section	.bss,"aw",@nobits
	.globl	__hip_cuid_c26be3282001a653
__hip_cuid_c26be3282001a653:
	.byte	0                               ; 0x0
	.size	__hip_cuid_c26be3282001a653, 1

	.ident	"AMD clang version 19.0.0git (https://github.com/RadeonOpenCompute/llvm-project roc-6.4.0 25133 c7fe45cf4b819c5991fe208aaa96edf142730f1d)"
	.section	".note.GNU-stack","",@progbits
	.addrsig
	.addrsig_sym __hip_cuid_c26be3282001a653
	.amdgpu_metadata
---
amdhsa.kernels:
  - .args:
      - .actual_access:  read_only
        .address_space:  global
        .offset:         0
        .size:           8
        .value_kind:     global_buffer
      - .actual_access:  read_only
        .address_space:  global
        .offset:         8
        .size:           8
        .value_kind:     global_buffer
      - .actual_access:  read_only
        .address_space:  global
        .offset:         16
        .size:           8
        .value_kind:     global_buffer
      - .actual_access:  read_only
        .address_space:  global
        .offset:         24
        .size:           8
        .value_kind:     global_buffer
      - .actual_access:  read_only
        .address_space:  global
        .offset:         32
        .size:           8
        .value_kind:     global_buffer
      - .offset:         40
        .size:           8
        .value_kind:     by_value
      - .address_space:  global
        .offset:         48
        .size:           8
        .value_kind:     global_buffer
      - .address_space:  global
        .offset:         56
        .size:           8
        .value_kind:     global_buffer
      - .address_space:  global
        .offset:         64
        .size:           8
        .value_kind:     global_buffer
      - .address_space:  global
        .offset:         72
        .size:           8
        .value_kind:     global_buffer
      - .offset:         80
        .size:           4
        .value_kind:     by_value
      - .address_space:  global
        .offset:         88
        .size:           8
        .value_kind:     global_buffer
      - .address_space:  global
        .offset:         96
        .size:           8
        .value_kind:     global_buffer
    .group_segment_fixed_size: 27216
    .kernarg_segment_align: 8
    .kernarg_segment_size: 104
    .language:       OpenCL C
    .language_version:
      - 2
      - 0
    .max_flat_workgroup_size: 63
    .name:           bluestein_single_back_len1701_dim1_dp_op_CI_CI
    .private_segment_fixed_size: 1848
    .sgpr_count:     30
    .sgpr_spill_count: 0
    .symbol:         bluestein_single_back_len1701_dim1_dp_op_CI_CI.kd
    .uniform_work_group_size: 1
    .uses_dynamic_stack: false
    .vgpr_count:     256
    .vgpr_spill_count: 465
    .wavefront_size: 32
    .workgroup_processor_mode: 1
amdhsa.target:   amdgcn-amd-amdhsa--gfx1100
amdhsa.version:
  - 1
  - 2
...

	.end_amdgpu_metadata
